;; amdgpu-corpus repo=ROCm/rocFFT kind=compiled arch=gfx906 opt=O3
	.text
	.amdgcn_target "amdgcn-amd-amdhsa--gfx906"
	.amdhsa_code_object_version 6
	.protected	fft_rtc_back_len1078_factors_2_11_7_7_wgs_231_tpt_77_halfLds_sp_ip_CI_unitstride_sbrr_R2C_dirReg ; -- Begin function fft_rtc_back_len1078_factors_2_11_7_7_wgs_231_tpt_77_halfLds_sp_ip_CI_unitstride_sbrr_R2C_dirReg
	.globl	fft_rtc_back_len1078_factors_2_11_7_7_wgs_231_tpt_77_halfLds_sp_ip_CI_unitstride_sbrr_R2C_dirReg
	.p2align	8
	.type	fft_rtc_back_len1078_factors_2_11_7_7_wgs_231_tpt_77_halfLds_sp_ip_CI_unitstride_sbrr_R2C_dirReg,@function
fft_rtc_back_len1078_factors_2_11_7_7_wgs_231_tpt_77_halfLds_sp_ip_CI_unitstride_sbrr_R2C_dirReg: ; @fft_rtc_back_len1078_factors_2_11_7_7_wgs_231_tpt_77_halfLds_sp_ip_CI_unitstride_sbrr_R2C_dirReg
; %bb.0:
	s_load_dwordx2 s[2:3], s[4:5], 0x50
	s_load_dwordx4 s[8:11], s[4:5], 0x0
	s_load_dwordx2 s[12:13], s[4:5], 0x18
	v_mul_u32_u24_e32 v1, 0x354, v0
	v_lshrrev_b32_e32 v1, 16, v1
	v_mad_u64_u32 v[1:2], s[0:1], s6, 3, v[1:2]
	v_mov_b32_e32 v5, 0
	s_waitcnt lgkmcnt(0)
	v_cmp_lt_u64_e64 s[0:1], s[10:11], 2
	v_mov_b32_e32 v2, v5
	v_mov_b32_e32 v3, 0
	;; [unrolled: 1-line block ×3, first 2 shown]
	s_and_b64 vcc, exec, s[0:1]
	v_mov_b32_e32 v4, 0
	v_mov_b32_e32 v9, v1
	s_cbranch_vccnz .LBB0_8
; %bb.1:
	s_load_dwordx2 s[0:1], s[4:5], 0x10
	s_add_u32 s6, s12, 8
	s_addc_u32 s7, s13, 0
	v_mov_b32_e32 v3, 0
	v_mov_b32_e32 v8, v2
	s_waitcnt lgkmcnt(0)
	s_add_u32 s16, s0, 8
	s_mov_b64 s[14:15], 1
	v_mov_b32_e32 v4, 0
	s_addc_u32 s17, s1, 0
	v_mov_b32_e32 v7, v1
.LBB0_2:                                ; =>This Inner Loop Header: Depth=1
	s_load_dwordx2 s[18:19], s[16:17], 0x0
                                        ; implicit-def: $vgpr9_vgpr10
	s_waitcnt lgkmcnt(0)
	v_or_b32_e32 v6, s19, v8
	v_cmp_ne_u64_e32 vcc, 0, v[5:6]
	s_and_saveexec_b64 s[0:1], vcc
	s_xor_b64 s[20:21], exec, s[0:1]
	s_cbranch_execz .LBB0_4
; %bb.3:                                ;   in Loop: Header=BB0_2 Depth=1
	v_cvt_f32_u32_e32 v2, s18
	v_cvt_f32_u32_e32 v6, s19
	s_sub_u32 s0, 0, s18
	s_subb_u32 s1, 0, s19
	v_mac_f32_e32 v2, 0x4f800000, v6
	v_rcp_f32_e32 v2, v2
	v_mul_f32_e32 v2, 0x5f7ffffc, v2
	v_mul_f32_e32 v6, 0x2f800000, v2
	v_trunc_f32_e32 v6, v6
	v_mac_f32_e32 v2, 0xcf800000, v6
	v_cvt_u32_f32_e32 v6, v6
	v_cvt_u32_f32_e32 v2, v2
	v_mul_lo_u32 v9, s0, v6
	v_mul_hi_u32 v10, s0, v2
	v_mul_lo_u32 v12, s1, v2
	v_mul_lo_u32 v11, s0, v2
	v_add_u32_e32 v9, v10, v9
	v_add_u32_e32 v9, v9, v12
	v_mul_hi_u32 v10, v2, v11
	v_mul_lo_u32 v12, v2, v9
	v_mul_hi_u32 v14, v2, v9
	v_mul_hi_u32 v13, v6, v11
	v_mul_lo_u32 v11, v6, v11
	v_mul_hi_u32 v15, v6, v9
	v_add_co_u32_e32 v10, vcc, v10, v12
	v_addc_co_u32_e32 v12, vcc, 0, v14, vcc
	v_mul_lo_u32 v9, v6, v9
	v_add_co_u32_e32 v10, vcc, v10, v11
	v_addc_co_u32_e32 v10, vcc, v12, v13, vcc
	v_addc_co_u32_e32 v11, vcc, 0, v15, vcc
	v_add_co_u32_e32 v9, vcc, v10, v9
	v_addc_co_u32_e32 v10, vcc, 0, v11, vcc
	v_add_co_u32_e32 v2, vcc, v2, v9
	v_addc_co_u32_e32 v6, vcc, v6, v10, vcc
	v_mul_lo_u32 v9, s0, v6
	v_mul_hi_u32 v10, s0, v2
	v_mul_lo_u32 v11, s1, v2
	v_mul_lo_u32 v12, s0, v2
	v_add_u32_e32 v9, v10, v9
	v_add_u32_e32 v9, v9, v11
	v_mul_lo_u32 v13, v2, v9
	v_mul_hi_u32 v14, v2, v12
	v_mul_hi_u32 v15, v2, v9
	;; [unrolled: 1-line block ×3, first 2 shown]
	v_mul_lo_u32 v12, v6, v12
	v_mul_hi_u32 v10, v6, v9
	v_add_co_u32_e32 v13, vcc, v14, v13
	v_addc_co_u32_e32 v14, vcc, 0, v15, vcc
	v_mul_lo_u32 v9, v6, v9
	v_add_co_u32_e32 v12, vcc, v13, v12
	v_addc_co_u32_e32 v11, vcc, v14, v11, vcc
	v_addc_co_u32_e32 v10, vcc, 0, v10, vcc
	v_add_co_u32_e32 v9, vcc, v11, v9
	v_addc_co_u32_e32 v10, vcc, 0, v10, vcc
	v_add_co_u32_e32 v2, vcc, v2, v9
	v_addc_co_u32_e32 v6, vcc, v6, v10, vcc
	v_mad_u64_u32 v[9:10], s[0:1], v7, v6, 0
	v_mul_hi_u32 v11, v7, v2
	v_add_co_u32_e32 v13, vcc, v11, v9
	v_addc_co_u32_e32 v14, vcc, 0, v10, vcc
	v_mad_u64_u32 v[9:10], s[0:1], v8, v2, 0
	v_mad_u64_u32 v[11:12], s[0:1], v8, v6, 0
	v_add_co_u32_e32 v2, vcc, v13, v9
	v_addc_co_u32_e32 v2, vcc, v14, v10, vcc
	v_addc_co_u32_e32 v6, vcc, 0, v12, vcc
	v_add_co_u32_e32 v2, vcc, v2, v11
	v_addc_co_u32_e32 v6, vcc, 0, v6, vcc
	v_mul_lo_u32 v11, s19, v2
	v_mul_lo_u32 v12, s18, v6
	v_mad_u64_u32 v[9:10], s[0:1], s18, v2, 0
	v_add3_u32 v10, v10, v12, v11
	v_sub_u32_e32 v11, v8, v10
	v_mov_b32_e32 v12, s19
	v_sub_co_u32_e32 v9, vcc, v7, v9
	v_subb_co_u32_e64 v11, s[0:1], v11, v12, vcc
	v_subrev_co_u32_e64 v12, s[0:1], s18, v9
	v_subbrev_co_u32_e64 v11, s[0:1], 0, v11, s[0:1]
	v_cmp_le_u32_e64 s[0:1], s19, v11
	v_cndmask_b32_e64 v13, 0, -1, s[0:1]
	v_cmp_le_u32_e64 s[0:1], s18, v12
	v_cndmask_b32_e64 v12, 0, -1, s[0:1]
	v_cmp_eq_u32_e64 s[0:1], s19, v11
	v_cndmask_b32_e64 v11, v13, v12, s[0:1]
	v_add_co_u32_e64 v12, s[0:1], 2, v2
	v_addc_co_u32_e64 v13, s[0:1], 0, v6, s[0:1]
	v_add_co_u32_e64 v14, s[0:1], 1, v2
	v_addc_co_u32_e64 v15, s[0:1], 0, v6, s[0:1]
	v_subb_co_u32_e32 v10, vcc, v8, v10, vcc
	v_cmp_ne_u32_e64 s[0:1], 0, v11
	v_cmp_le_u32_e32 vcc, s19, v10
	v_cndmask_b32_e64 v11, v15, v13, s[0:1]
	v_cndmask_b32_e64 v13, 0, -1, vcc
	v_cmp_le_u32_e32 vcc, s18, v9
	v_cndmask_b32_e64 v9, 0, -1, vcc
	v_cmp_eq_u32_e32 vcc, s19, v10
	v_cndmask_b32_e32 v9, v13, v9, vcc
	v_cmp_ne_u32_e32 vcc, 0, v9
	v_cndmask_b32_e32 v10, v6, v11, vcc
	v_cndmask_b32_e64 v6, v14, v12, s[0:1]
	v_cndmask_b32_e32 v9, v2, v6, vcc
.LBB0_4:                                ;   in Loop: Header=BB0_2 Depth=1
	s_andn2_saveexec_b64 s[0:1], s[20:21]
	s_cbranch_execz .LBB0_6
; %bb.5:                                ;   in Loop: Header=BB0_2 Depth=1
	v_cvt_f32_u32_e32 v2, s18
	s_sub_i32 s20, 0, s18
	v_rcp_iflag_f32_e32 v2, v2
	v_mul_f32_e32 v2, 0x4f7ffffe, v2
	v_cvt_u32_f32_e32 v2, v2
	v_mul_lo_u32 v6, s20, v2
	v_mul_hi_u32 v6, v2, v6
	v_add_u32_e32 v2, v2, v6
	v_mul_hi_u32 v2, v7, v2
	v_mul_lo_u32 v6, v2, s18
	v_add_u32_e32 v9, 1, v2
	v_sub_u32_e32 v6, v7, v6
	v_subrev_u32_e32 v10, s18, v6
	v_cmp_le_u32_e32 vcc, s18, v6
	v_cndmask_b32_e32 v6, v6, v10, vcc
	v_cndmask_b32_e32 v2, v2, v9, vcc
	v_add_u32_e32 v9, 1, v2
	v_cmp_le_u32_e32 vcc, s18, v6
	v_cndmask_b32_e32 v9, v2, v9, vcc
	v_mov_b32_e32 v10, v5
.LBB0_6:                                ;   in Loop: Header=BB0_2 Depth=1
	s_or_b64 exec, exec, s[0:1]
	v_mul_lo_u32 v2, v10, s18
	v_mul_lo_u32 v6, v9, s19
	v_mad_u64_u32 v[11:12], s[0:1], v9, s18, 0
	s_load_dwordx2 s[0:1], s[6:7], 0x0
	s_add_u32 s14, s14, 1
	v_add3_u32 v2, v12, v6, v2
	v_sub_co_u32_e32 v6, vcc, v7, v11
	v_subb_co_u32_e32 v2, vcc, v8, v2, vcc
	s_waitcnt lgkmcnt(0)
	v_mul_lo_u32 v2, s0, v2
	v_mul_lo_u32 v7, s1, v6
	v_mad_u64_u32 v[3:4], s[0:1], s0, v6, v[3:4]
	s_addc_u32 s15, s15, 0
	s_add_u32 s6, s6, 8
	v_add3_u32 v4, v7, v4, v2
	v_mov_b32_e32 v6, s10
	v_mov_b32_e32 v7, s11
	s_addc_u32 s7, s7, 0
	v_cmp_ge_u64_e32 vcc, s[14:15], v[6:7]
	s_add_u32 s16, s16, 8
	s_addc_u32 s17, s17, 0
	s_cbranch_vccnz .LBB0_8
; %bb.7:                                ;   in Loop: Header=BB0_2 Depth=1
	v_mov_b32_e32 v7, v9
	v_mov_b32_e32 v8, v10
	s_branch .LBB0_2
.LBB0_8:
	s_lshl_b64 s[0:1], s[10:11], 3
	s_add_u32 s0, s12, s0
	s_addc_u32 s1, s13, s1
	s_load_dwordx2 s[0:1], s[0:1], 0x0
	s_mov_b32 s6, 0xaaaaaaab
	v_mul_hi_u32 v5, v1, s6
                                        ; implicit-def: $vgpr45
                                        ; implicit-def: $vgpr48
                                        ; implicit-def: $vgpr47
                                        ; implicit-def: $vgpr44
	s_waitcnt lgkmcnt(0)
	v_mul_lo_u32 v6, s0, v10
	v_mul_lo_u32 v7, s1, v9
	v_mad_u64_u32 v[2:3], s[0:1], s0, v9, v[3:4]
	s_load_dwordx2 s[0:1], s[4:5], 0x20
	s_mov_b32 s4, 0x3531ded
	v_lshrrev_b32_e32 v4, 1, v5
	v_mul_hi_u32 v5, v0, s4
	v_lshl_add_u32 v4, v4, 1, v4
	v_sub_u32_e32 v1, v1, v4
	s_waitcnt lgkmcnt(0)
	v_cmp_gt_u64_e32 vcc, s[0:1], v[9:10]
	v_cmp_le_u64_e64 s[0:1], s[0:1], v[9:10]
	v_mul_u32_u24_e32 v4, 0x4d, v5
	v_add3_u32 v3, v7, v3, v6
	v_sub_u32_e32 v40, v0, v4
	s_and_saveexec_b64 s[4:5], s[0:1]
	s_xor_b64 s[0:1], exec, s[4:5]
; %bb.9:
	v_add_u32_e32 v45, 0x4d, v40
	v_add_u32_e32 v48, 0x9a, v40
	;; [unrolled: 1-line block ×4, first 2 shown]
; %bb.10:
	s_or_saveexec_b64 s[4:5], s[0:1]
	v_mul_u32_u24_e32 v0, 0x437, v1
	v_lshlrev_b64 v[42:43], 3, v[2:3]
	v_lshlrev_b32_e32 v55, 3, v0
	v_lshlrev_b32_e32 v46, 3, v40
	s_xor_b64 exec, exec, s[4:5]
	s_cbranch_execz .LBB0_12
; %bb.11:
	v_mov_b32_e32 v41, 0
	v_mov_b32_e32 v0, s3
	v_add_co_u32_e64 v2, s[0:1], s2, v42
	v_addc_co_u32_e64 v3, s[0:1], v0, v43, s[0:1]
	v_lshlrev_b64 v[0:1], 3, v[40:41]
	v_add_u32_e32 v45, 0x4d, v40
	v_add_co_u32_e64 v0, s[0:1], v2, v0
	v_addc_co_u32_e64 v1, s[0:1], v3, v1, s[0:1]
	s_movk_i32 s0, 0x1000
	v_add_co_u32_e64 v10, s[0:1], s0, v0
	global_load_dwordx2 v[2:3], v[0:1], off
	global_load_dwordx2 v[4:5], v[0:1], off offset:616
	global_load_dwordx2 v[6:7], v[0:1], off offset:1232
	;; [unrolled: 1-line block ×3, first 2 shown]
	v_addc_co_u32_e64 v11, s[0:1], 0, v1, s[0:1]
	global_load_dwordx2 v[12:13], v[0:1], off offset:2464
	global_load_dwordx2 v[14:15], v[0:1], off offset:3080
	;; [unrolled: 1-line block ×10, first 2 shown]
	v_add3_u32 v0, 0, v55, v46
	v_add_u32_e32 v48, 0x9a, v40
	v_add_u32_e32 v47, 0x134, v40
	;; [unrolled: 1-line block ×7, first 2 shown]
	s_waitcnt vmcnt(12)
	ds_write2_b64 v0, v[2:3], v[4:5] offset1:77
	s_waitcnt vmcnt(10)
	ds_write2_b64 v0, v[6:7], v[8:9] offset0:154 offset1:231
	s_waitcnt vmcnt(8)
	ds_write2_b64 v1, v[12:13], v[14:15] offset0:52 offset1:129
	;; [unrolled: 2-line block ×6, first 2 shown]
.LBB0_12:
	s_or_b64 exec, exec, s[4:5]
	v_add3_u32 v41, 0, v46, v55
	v_add_u32_e32 v54, 0, v55
	v_add_u32_e32 v8, 0x1000, v41
	s_waitcnt lgkmcnt(0)
	s_barrier
	v_add_u32_e32 v53, v54, v46
	ds_read2_b64 v[0:3], v8 offset0:27 offset1:104
	ds_read_b64 v[4:5], v53
	ds_read2_b64 v[13:16], v41 offset0:77 offset1:154
	ds_read_b64 v[9:10], v41 offset:8008
	v_add_u32_e32 v12, 0x1400, v41
	v_add_u32_e32 v6, 0x400, v41
	s_waitcnt lgkmcnt(2)
	v_sub_f32_e32 v29, v4, v0
	v_sub_f32_e32 v30, v5, v1
	s_waitcnt lgkmcnt(1)
	v_sub_f32_e32 v31, v13, v2
	v_sub_f32_e32 v32, v14, v3
	v_fma_f32 v33, v4, 2.0, -v29
	v_fma_f32 v34, v5, 2.0, -v30
	v_add_u32_e32 v5, 0x1800, v41
	v_add_u32_e32 v4, 0x800, v41
	ds_read2_b64 v[0:3], v12 offset0:53 offset1:130
	ds_read2_b64 v[17:20], v6 offset0:103 offset1:180
	;; [unrolled: 1-line block ×4, first 2 shown]
	v_lshl_add_u32 v7, v40, 4, v54
	v_fma_f32 v13, v13, 2.0, -v31
	v_fma_f32 v14, v14, 2.0, -v32
	v_lshl_add_u32 v11, v45, 4, v54
	s_waitcnt lgkmcnt(3)
	v_sub_f32_e32 v0, v15, v0
	v_sub_f32_e32 v1, v16, v1
	s_waitcnt lgkmcnt(0)
	s_barrier
	ds_write2_b64 v7, v[33:34], v[29:30] offset1:1
	ds_write2_b64 v11, v[13:14], v[31:32] offset1:1
	v_fma_f32 v13, v15, 2.0, -v0
	v_fma_f32 v14, v16, 2.0, -v1
	v_lshl_add_u32 v11, v48, 4, v54
	ds_write2_b64 v11, v[13:14], v[0:1] offset1:1
	v_sub_f32_e32 v0, v17, v2
	v_sub_f32_e32 v1, v18, v3
	v_fma_f32 v2, v17, 2.0, -v0
	v_fma_f32 v3, v18, 2.0, -v1
	v_add_u32_e32 v11, 0xe70, v7
	ds_write2_b64 v11, v[2:3], v[0:1] offset1:1
	v_sub_f32_e32 v0, v19, v21
	v_sub_f32_e32 v1, v20, v22
	v_fma_f32 v2, v19, 2.0, -v0
	v_fma_f32 v3, v20, 2.0, -v1
	v_lshl_add_u32 v11, v47, 4, v54
	v_sub_f32_e32 v49, v25, v23
	v_sub_f32_e32 v50, v26, v24
	ds_write2_b64 v11, v[2:3], v[0:1] offset1:1
	v_sub_f32_e32 v2, v27, v9
	v_sub_f32_e32 v3, v28, v10
	v_fma_f32 v9, v25, 2.0, -v49
	v_fma_f32 v10, v26, 2.0, -v50
	v_add_u32_e32 v7, 0x1810, v7
	v_fma_f32 v0, v27, 2.0, -v2
	v_fma_f32 v1, v28, 2.0, -v3
	ds_write2_b64 v7, v[9:10], v[49:50] offset1:1
	v_lshl_add_u32 v7, v44, 4, v54
	ds_write2_b64 v7, v[0:1], v[2:3] offset1:1
	s_waitcnt lgkmcnt(0)
	s_barrier
	v_add_u32_e32 v7, 0xc00, v41
	ds_read_b64 v[51:52], v53
	ds_read2_b64 v[24:27], v7 offset0:106 offset1:204
	ds_read2_b64 v[20:23], v5 offset0:114 offset1:212
	;; [unrolled: 1-line block ×5, first 2 shown]
	v_cmp_gt_u32_e64 s[0:1], 21, v40
	v_lshlrev_b32_e32 v56, 3, v45
                                        ; implicit-def: $vgpr5
                                        ; implicit-def: $vgpr9
                                        ; implicit-def: $vgpr19
                                        ; implicit-def: $vgpr15
	s_and_saveexec_b64 s[4:5], s[0:1]
	s_cbranch_execz .LBB0_14
; %bb.13:
	v_add3_u32 v0, 0, v56, v55
	ds_read_b64 v[49:50], v0
	ds_read2_b64 v[0:3], v6 offset0:47 offset1:145
	ds_read2_b64 v[4:7], v4 offset0:115 offset1:213
	ds_read2_b64 v[8:11], v8 offset0:55 offset1:153
	ds_read2_b64 v[12:15], v12 offset0:123 offset1:221
	v_add_u32_e32 v16, 0x1c00, v41
	ds_read2_b64 v[16:19], v16 offset0:63 offset1:161
.LBB0_14:
	s_or_b64 exec, exec, s[4:5]
	v_and_b32_e32 v57, 1, v40
	v_mul_u32_u24_e32 v58, 10, v57
	v_lshlrev_b32_e32 v78, 3, v58
	global_load_dwordx4 v[58:61], v78, s[8:9]
	global_load_dwordx4 v[62:65], v78, s[8:9] offset:16
	global_load_dwordx4 v[66:69], v78, s[8:9] offset:32
	;; [unrolled: 1-line block ×4, first 2 shown]
	s_mov_b32 s7, 0x3ed4b147
	s_mov_b32 s6, 0x3f575c64
	;; [unrolled: 1-line block ×5, first 2 shown]
	s_waitcnt vmcnt(0) lgkmcnt(0)
	s_barrier
	v_mul_f32_e32 v78, v59, v37
	v_mul_f32_e32 v59, v59, v36
	;; [unrolled: 1-line block ×5, first 2 shown]
	v_fmac_f32_e32 v78, v58, v36
	v_fma_f32 v36, v58, v37, -v59
	v_mul_f32_e32 v80, v63, v33
	v_mul_f32_e32 v63, v63, v32
	;; [unrolled: 1-line block ×3, first 2 shown]
	v_fma_f32 v37, v60, v39, -v61
	v_fmac_f32_e32 v87, v22, v76
	v_add_f32_e32 v22, v36, v52
	v_mul_f32_e32 v81, v65, v35
	v_mul_f32_e32 v65, v65, v34
	v_fmac_f32_e32 v80, v62, v32
	v_fma_f32 v32, v62, v33, -v63
	v_add_f32_e32 v22, v22, v37
	v_mul_f32_e32 v82, v67, v25
	v_mul_f32_e32 v67, v67, v24
	v_fma_f32 v33, v64, v35, -v65
	v_add_f32_e32 v22, v22, v32
	v_mul_f32_e32 v83, v69, v27
	v_mul_f32_e32 v69, v69, v26
	v_fmac_f32_e32 v82, v66, v24
	v_fma_f32 v24, v66, v25, -v67
	v_add_f32_e32 v22, v22, v33
	v_mul_f32_e32 v84, v71, v29
	v_mul_f32_e32 v71, v71, v28
	;; [unrolled: 1-line block ×4, first 2 shown]
	v_fma_f32 v25, v68, v27, -v69
	v_add_f32_e32 v22, v22, v24
	v_mul_f32_e32 v85, v73, v31
	v_mul_f32_e32 v73, v73, v30
	v_fmac_f32_e32 v83, v68, v26
	v_fmac_f32_e32 v84, v70, v28
	v_fma_f32 v26, v70, v29, -v71
	v_fma_f32 v28, v21, v74, -v75
	v_fma_f32 v21, v23, v76, -v77
	v_add_f32_e32 v22, v22, v25
	v_fma_f32 v27, v72, v31, -v73
	v_add_f32_e32 v29, v36, v21
	v_sub_f32_e32 v31, v36, v21
	v_add_f32_e32 v22, v22, v26
	v_fmac_f32_e32 v79, v60, v38
	v_fmac_f32_e32 v85, v72, v30
	v_add_f32_e32 v23, v78, v87
	v_sub_f32_e32 v30, v78, v87
	v_mul_f32_e32 v36, 0xbf68dda4, v31
	v_mul_f32_e32 v38, 0x3ed4b147, v29
	v_add_f32_e32 v22, v22, v27
	v_mov_b32_e32 v59, v36
	v_mov_b32_e32 v60, v38
	v_fma_f32 v36, v23, s7, -v36
	v_add_f32_e32 v22, v22, v28
	v_fmac_f32_e32 v38, 0xbf68dda4, v30
	v_fmac_f32_e32 v81, v64, v34
	v_mul_f32_e32 v34, 0xbf0a6770, v31
	v_add_f32_e32 v21, v22, v21
	v_add_f32_e32 v22, v36, v51
	;; [unrolled: 1-line block ×3, first 2 shown]
	v_mul_f32_e32 v38, 0xbf7d64f0, v31
	v_mul_f32_e32 v64, 0xbf4178ce, v31
	;; [unrolled: 1-line block ×4, first 2 shown]
	v_mov_b32_e32 v39, v34
	v_mov_b32_e32 v61, v38
	v_mul_f32_e32 v62, 0xbe11bafb, v29
	v_mov_b32_e32 v65, v64
	v_mul_f32_e32 v66, 0xbf27a4f4, v29
	;; [unrolled: 2-line block ×3, first 2 shown]
	v_mov_b32_e32 v58, v35
	v_fma_f32 v34, v23, s6, -v34
	v_fmac_f32_e32 v39, 0x3f575c64, v23
	v_fmac_f32_e32 v59, 0x3ed4b147, v23
	;; [unrolled: 1-line block ×3, first 2 shown]
	v_mov_b32_e32 v63, v62
	v_fma_f32 v38, v23, s10, -v38
	v_fmac_f32_e32 v65, 0xbf27a4f4, v23
	v_mov_b32_e32 v67, v66
	v_fma_f32 v64, v23, s11, -v64
	v_fmac_f32_e32 v68, 0xbf75a155, v23
	v_mov_b32_e32 v69, v29
	v_fma_f32 v23, v23, s12, -v31
	v_add_f32_e32 v31, v37, v28
	v_sub_f32_e32 v28, v37, v28
	v_fmac_f32_e32 v86, v20, v74
	v_fmac_f32_e32 v35, 0xbf0a6770, v30
	;; [unrolled: 1-line block ×10, first 2 shown]
	v_mul_f32_e32 v37, 0xbf68dda4, v28
	v_add_f32_e32 v35, v35, v52
	v_add_f32_e32 v58, v58, v52
	;; [unrolled: 1-line block ×10, first 2 shown]
	v_mov_b32_e32 v52, v37
	v_add_f32_e32 v39, v39, v51
	v_fmac_f32_e32 v52, 0x3ed4b147, v30
	v_add_f32_e32 v20, v78, v51
	v_add_f32_e32 v34, v34, v51
	;; [unrolled: 1-line block ×9, first 2 shown]
	v_sub_f32_e32 v51, v79, v86
	v_add_f32_e32 v39, v52, v39
	v_mul_f32_e32 v52, 0x3ed4b147, v31
	v_fma_f32 v37, v30, s7, -v37
	v_mov_b32_e32 v70, v52
	v_add_f32_e32 v34, v37, v34
	v_fmac_f32_e32 v52, 0xbf68dda4, v51
	v_mul_f32_e32 v37, 0xbf4178ce, v28
	v_add_f32_e32 v35, v52, v35
	v_mov_b32_e32 v52, v37
	v_fmac_f32_e32 v52, 0xbf27a4f4, v30
	v_fmac_f32_e32 v70, 0x3f68dda4, v51
	v_add_f32_e32 v52, v52, v59
	v_mul_f32_e32 v59, 0xbf27a4f4, v31
	v_fma_f32 v37, v30, s11, -v37
	v_add_f32_e32 v58, v70, v58
	v_mov_b32_e32 v70, v59
	v_add_f32_e32 v22, v37, v22
	v_fmac_f32_e32 v59, 0xbf4178ce, v51
	v_mul_f32_e32 v37, 0x3e903f40, v28
	v_add_f32_e32 v36, v59, v36
	v_mov_b32_e32 v59, v37
	v_fmac_f32_e32 v59, 0xbf75a155, v30
	v_fmac_f32_e32 v70, 0x3f4178ce, v51
	v_add_f32_e32 v59, v59, v61
	v_mul_f32_e32 v61, 0xbf75a155, v31
	v_add_f32_e32 v60, v70, v60
	v_mov_b32_e32 v70, v61
	v_fma_f32 v37, v30, s12, -v37
	v_fmac_f32_e32 v61, 0x3e903f40, v51
	v_add_f32_e32 v37, v37, v38
	v_add_f32_e32 v38, v61, v62
	v_mul_f32_e32 v61, 0x3f7d64f0, v28
	v_mov_b32_e32 v62, v61
	v_fmac_f32_e32 v62, 0xbe11bafb, v30
	v_fmac_f32_e32 v70, 0xbe903f40, v51
	v_add_f32_e32 v62, v62, v65
	v_mul_f32_e32 v65, 0xbe11bafb, v31
	v_add_f32_e32 v63, v70, v63
	v_mov_b32_e32 v70, v65
	v_fma_f32 v61, v30, s10, -v61
	v_fmac_f32_e32 v65, 0x3f7d64f0, v51
	v_mul_f32_e32 v28, 0x3f0a6770, v28
	v_add_f32_e32 v61, v61, v64
	v_add_f32_e32 v64, v65, v66
	v_mov_b32_e32 v65, v28
	v_fmac_f32_e32 v65, 0x3f575c64, v30
	v_mul_f32_e32 v31, 0x3f575c64, v31
	v_fma_f32 v28, v30, s6, -v28
	v_add_f32_e32 v30, v32, v27
	v_sub_f32_e32 v27, v32, v27
	v_mov_b32_e32 v66, v31
	v_fmac_f32_e32 v31, 0x3f0a6770, v51
	v_mul_f32_e32 v32, 0xbf7d64f0, v27
	v_fmac_f32_e32 v70, 0xbf7d64f0, v51
	v_fmac_f32_e32 v66, 0xbf0a6770, v51
	v_add_f32_e32 v23, v28, v23
	v_add_f32_e32 v28, v31, v29
	;; [unrolled: 1-line block ×3, first 2 shown]
	v_mov_b32_e32 v51, v32
	v_fmac_f32_e32 v51, 0xbe11bafb, v29
	v_sub_f32_e32 v31, v80, v85
	v_add_f32_e32 v39, v51, v39
	v_mul_f32_e32 v51, 0xbe11bafb, v30
	v_add_f32_e32 v65, v65, v68
	v_mov_b32_e32 v68, v51
	v_fma_f32 v32, v29, s10, -v32
	v_fmac_f32_e32 v51, 0xbf7d64f0, v31
	v_add_f32_e32 v32, v32, v34
	v_add_f32_e32 v34, v51, v35
	v_mul_f32_e32 v35, 0x3e903f40, v27
	v_mov_b32_e32 v51, v35
	v_fmac_f32_e32 v51, 0xbf75a155, v29
	v_fmac_f32_e32 v68, 0x3f7d64f0, v31
	v_add_f32_e32 v51, v51, v52
	v_mul_f32_e32 v52, 0xbf75a155, v30
	v_add_f32_e32 v58, v68, v58
	v_mov_b32_e32 v68, v52
	v_fma_f32 v35, v29, s12, -v35
	v_fmac_f32_e32 v52, 0x3e903f40, v31
	v_add_f32_e32 v22, v35, v22
	v_add_f32_e32 v35, v52, v36
	v_mul_f32_e32 v36, 0x3f68dda4, v27
	v_mov_b32_e32 v52, v36
	v_fmac_f32_e32 v52, 0x3ed4b147, v29
	v_fmac_f32_e32 v68, 0xbe903f40, v31
	v_add_f32_e32 v52, v52, v59
	v_mul_f32_e32 v59, 0x3ed4b147, v30
	v_add_f32_e32 v60, v68, v60
	v_mov_b32_e32 v68, v59
	v_fma_f32 v36, v29, s7, -v36
	v_fmac_f32_e32 v59, 0x3f68dda4, v31
	v_add_f32_e32 v36, v36, v37
	v_add_f32_e32 v37, v59, v38
	v_mul_f32_e32 v38, 0xbf0a6770, v27
	v_mov_b32_e32 v59, v38
	v_fmac_f32_e32 v59, 0x3f575c64, v29
	v_fmac_f32_e32 v68, 0xbf68dda4, v31
	v_add_f32_e32 v59, v59, v62
	v_mul_f32_e32 v62, 0x3f575c64, v30
	v_add_f32_e32 v63, v68, v63
	v_mov_b32_e32 v68, v62
	v_fma_f32 v38, v29, s6, -v38
	v_fmac_f32_e32 v62, 0xbf0a6770, v31
	v_mul_f32_e32 v27, 0xbf4178ce, v27
	v_add_f32_e32 v38, v38, v61
	v_add_f32_e32 v61, v62, v64
	v_mov_b32_e32 v62, v27
	v_mul_f32_e32 v30, 0xbf27a4f4, v30
	v_fmac_f32_e32 v62, 0xbf27a4f4, v29
	v_mov_b32_e32 v64, v30
	v_fma_f32 v27, v29, s11, -v27
	v_add_f32_e32 v29, v33, v26
	v_sub_f32_e32 v26, v33, v26
	v_fmac_f32_e32 v68, 0x3f0a6770, v31
	v_fmac_f32_e32 v64, 0x3f4178ce, v31
	;; [unrolled: 1-line block ×3, first 2 shown]
	v_mul_f32_e32 v31, 0xbf4178ce, v26
	v_add_f32_e32 v23, v27, v23
	v_add_f32_e32 v27, v30, v28
	;; [unrolled: 1-line block ×3, first 2 shown]
	v_mov_b32_e32 v33, v31
	v_fmac_f32_e32 v33, 0xbf27a4f4, v28
	v_sub_f32_e32 v30, v81, v84
	v_add_f32_e32 v33, v33, v39
	v_mul_f32_e32 v39, 0xbf27a4f4, v29
	v_add_f32_e32 v62, v62, v65
	v_mov_b32_e32 v65, v39
	v_fma_f32 v31, v28, s11, -v31
	v_fmac_f32_e32 v39, 0xbf4178ce, v30
	v_add_f32_e32 v31, v31, v32
	v_add_f32_e32 v32, v39, v34
	v_mul_f32_e32 v34, 0x3f7d64f0, v26
	v_mov_b32_e32 v39, v34
	v_fmac_f32_e32 v39, 0xbe11bafb, v28
	v_fmac_f32_e32 v65, 0x3f4178ce, v30
	v_add_f32_e32 v39, v39, v51
	v_mul_f32_e32 v51, 0xbe11bafb, v29
	v_fma_f32 v34, v28, s10, -v34
	v_add_f32_e32 v58, v65, v58
	v_mov_b32_e32 v65, v51
	v_add_f32_e32 v34, v34, v22
	v_fmac_f32_e32 v51, 0x3f7d64f0, v30
	v_mul_f32_e32 v22, 0xbf0a6770, v26
	v_add_f32_e32 v35, v51, v35
	v_mov_b32_e32 v51, v22
	v_fmac_f32_e32 v51, 0x3f575c64, v28
	v_fmac_f32_e32 v65, 0xbf7d64f0, v30
	v_add_f32_e32 v51, v51, v52
	v_mul_f32_e32 v52, 0x3f575c64, v29
	v_fma_f32 v22, v28, s6, -v22
	v_add_f32_e32 v60, v65, v60
	v_mov_b32_e32 v65, v52
	v_add_f32_e32 v36, v22, v36
	v_fmac_f32_e32 v52, 0xbf0a6770, v30
	v_mul_f32_e32 v22, 0xbe903f40, v26
	v_add_f32_e32 v37, v52, v37
	v_mov_b32_e32 v52, v22
	v_fma_f32 v22, v28, s12, -v22
	v_fmac_f32_e32 v52, 0xbf75a155, v28
	v_add_f32_e32 v38, v22, v38
	v_mul_f32_e32 v22, 0x3f68dda4, v26
	v_fmac_f32_e32 v65, 0x3f0a6770, v30
	v_add_f32_e32 v52, v52, v59
	v_mul_f32_e32 v59, 0xbf75a155, v29
	v_mov_b32_e32 v26, v22
	v_add_f32_e32 v63, v65, v63
	v_mov_b32_e32 v65, v59
	v_fmac_f32_e32 v59, 0xbe903f40, v30
	v_fmac_f32_e32 v26, 0x3ed4b147, v28
	v_add_f32_e32 v67, v70, v67
	v_add_f32_e32 v59, v59, v61
	;; [unrolled: 1-line block ×3, first 2 shown]
	v_mul_f32_e32 v26, 0x3ed4b147, v29
	v_add_f32_e32 v66, v66, v69
	v_add_f32_e32 v67, v68, v67
	v_mov_b32_e32 v29, v26
	v_add_f32_e32 v68, v24, v25
	v_add_f32_e32 v64, v64, v66
	v_fmac_f32_e32 v29, 0xbf68dda4, v30
	v_fma_f32 v22, v28, s7, -v22
	v_sub_f32_e32 v69, v82, v83
	v_sub_f32_e32 v70, v24, v25
	v_mul_f32_e32 v25, 0xbf75a155, v68
	v_add_f32_e32 v20, v20, v79
	v_fmac_f32_e32 v65, 0x3e903f40, v30
	v_add_f32_e32 v62, v29, v64
	v_add_f32_e32 v64, v22, v23
	v_mov_b32_e32 v23, v25
	v_fmac_f32_e32 v25, 0xbe903f40, v69
	v_add_f32_e32 v20, v20, v80
	v_add_f32_e32 v65, v65, v67
	v_add_f32_e32 v67, v82, v83
	v_mul_f32_e32 v24, 0xbe903f40, v70
	v_add_f32_e32 v25, v25, v32
	v_mul_f32_e32 v32, 0xbf4178ce, v70
	v_add_f32_e32 v20, v20, v81
	v_fmac_f32_e32 v26, 0x3f68dda4, v30
	v_mov_b32_e32 v22, v24
	v_mul_f32_e32 v28, 0x3f0a6770, v70
	v_mov_b32_e32 v30, v32
	v_fma_f32 v32, v67, s11, -v32
	v_add_f32_e32 v20, v20, v82
	v_add_f32_e32 v66, v26, v27
	v_fmac_f32_e32 v22, 0xbf75a155, v67
	v_fmac_f32_e32 v23, 0x3e903f40, v69
	v_mov_b32_e32 v26, v28
	v_fma_f32 v28, v67, s6, -v28
	v_add_f32_e32 v32, v32, v36
	v_mul_f32_e32 v36, 0x3f68dda4, v70
	v_add_f32_e32 v20, v20, v83
	v_add_f32_e32 v22, v22, v33
	;; [unrolled: 1-line block ×3, first 2 shown]
	v_fma_f32 v24, v67, s12, -v24
	v_add_f32_e32 v28, v28, v34
	v_mul_f32_e32 v33, 0xbf27a4f4, v68
	v_mov_b32_e32 v34, v36
	v_lshrrev_b32_e32 v58, 1, v40
	v_add_f32_e32 v20, v20, v84
	v_add_f32_e32 v24, v24, v31
	v_mul_f32_e32 v29, 0x3f575c64, v68
	v_fmac_f32_e32 v30, 0xbf27a4f4, v67
	v_mov_b32_e32 v31, v33
	v_fmac_f32_e32 v33, 0xbf4178ce, v69
	v_fmac_f32_e32 v34, 0x3ed4b147, v67
	v_mul_u32_u24_e32 v58, 22, v58
	v_add_f32_e32 v20, v20, v85
	v_fmac_f32_e32 v26, 0x3f575c64, v67
	v_mov_b32_e32 v27, v29
	v_fmac_f32_e32 v29, 0x3f0a6770, v69
	v_add_f32_e32 v30, v30, v51
	v_add_f32_e32 v33, v33, v37
	;; [unrolled: 1-line block ×3, first 2 shown]
	v_mul_f32_e32 v37, 0x3ed4b147, v68
	v_fma_f32 v36, v67, s7, -v36
	v_mul_f32_e32 v51, 0xbf7d64f0, v70
	v_mul_f32_e32 v52, 0xbe11bafb, v68
	v_or_b32_e32 v57, v58, v57
	v_add_f32_e32 v20, v20, v86
	v_add_f32_e32 v26, v26, v39
	;; [unrolled: 1-line block ×3, first 2 shown]
	v_mov_b32_e32 v35, v37
	v_add_f32_e32 v36, v36, v38
	v_mov_b32_e32 v38, v51
	v_mov_b32_e32 v39, v52
	v_lshlrev_b32_e32 v57, 3, v57
	v_add_f32_e32 v20, v20, v87
	v_fmac_f32_e32 v27, 0xbf0a6770, v69
	v_fmac_f32_e32 v31, 0x3f4178ce, v69
	;; [unrolled: 1-line block ×6, first 2 shown]
	v_fma_f32 v51, v67, s10, -v51
	v_fmac_f32_e32 v52, 0xbf7d64f0, v69
	v_add3_u32 v57, 0, v57, v55
	v_add_f32_e32 v27, v27, v60
	v_add_f32_e32 v31, v31, v63
	;; [unrolled: 1-line block ×8, first 2 shown]
	ds_write2_b64 v57, v[20:21], v[22:23] offset1:2
	ds_write2_b64 v57, v[26:27], v[30:31] offset0:4 offset1:6
	ds_write2_b64 v57, v[34:35], v[38:39] offset0:8 offset1:10
	;; [unrolled: 1-line block ×4, first 2 shown]
	ds_write_b64 v57, v[24:25] offset:160
	s_and_saveexec_b64 s[4:5], s[0:1]
	s_cbranch_execz .LBB0_16
; %bb.15:
	v_and_b32_e32 v51, 1, v45
	v_mul_u32_u24_e32 v20, 10, v51
	v_lshlrev_b32_e32 v52, 3, v20
	global_load_dwordx4 v[20:23], v52, s[8:9] offset:64
	global_load_dwordx4 v[24:27], v52, s[8:9]
	global_load_dwordx4 v[28:31], v52, s[8:9] offset:48
	global_load_dwordx4 v[32:35], v52, s[8:9] offset:16
	;; [unrolled: 1-line block ×3, first 2 shown]
	s_waitcnt vmcnt(4)
	v_mul_f32_e32 v52, v18, v23
	s_waitcnt vmcnt(3)
	v_mul_f32_e32 v57, v0, v25
	v_mul_f32_e32 v23, v19, v23
	;; [unrolled: 1-line block ×4, first 2 shown]
	s_waitcnt vmcnt(0)
	v_mul_f32_e32 v65, v8, v37
	v_mul_f32_e32 v37, v9, v37
	v_fma_f32 v19, v19, v22, -v52
	v_fma_f32 v52, v1, v24, -v57
	v_mul_f32_e32 v25, v1, v25
	v_mul_f32_e32 v21, v17, v21
	;; [unrolled: 1-line block ×6, first 2 shown]
	v_fmac_f32_e32 v23, v18, v22
	v_fma_f32 v17, v17, v20, -v58
	v_fma_f32 v18, v3, v26, -v59
	v_fmac_f32_e32 v37, v8, v36
	v_add_f32_e32 v8, v52, v19
	v_mul_f32_e32 v27, v3, v27
	v_mul_f32_e32 v31, v15, v31
	;; [unrolled: 1-line block ×5, first 2 shown]
	v_fmac_f32_e32 v25, v0, v24
	v_fmac_f32_e32 v21, v16, v20
	v_fma_f32 v15, v15, v30, -v60
	v_fma_f32 v16, v5, v32, -v61
	v_fmac_f32_e32 v29, v12, v28
	v_fma_f32 v12, v9, v36, -v65
	v_add_f32_e32 v9, v18, v17
	v_mul_f32_e32 v60, 0xbf75a155, v8
	v_mul_f32_e32 v33, v5, v33
	v_fmac_f32_e32 v27, v2, v26
	v_fmac_f32_e32 v31, v14, v30
	v_fma_f32 v13, v13, v28, -v62
	v_fma_f32 v14, v7, v34, -v63
	v_fmac_f32_e32 v39, v10, v38
	v_sub_f32_e32 v20, v25, v23
	v_add_f32_e32 v10, v16, v15
	v_sub_f32_e32 v36, v52, v19
	v_mul_f32_e32 v61, 0x3f575c64, v9
	v_mov_b32_e32 v0, v60
	v_mul_f32_e32 v35, v7, v35
	v_fmac_f32_e32 v33, v4, v32
	v_fma_f32 v11, v11, v38, -v64
	v_sub_f32_e32 v22, v27, v21
	v_add_f32_e32 v26, v14, v13
	v_sub_f32_e32 v57, v18, v17
	v_mul_f32_e32 v62, 0xbf27a4f4, v10
	v_mul_f32_e32 v65, 0xbe903f40, v36
	v_mov_b32_e32 v1, v61
	v_fmac_f32_e32 v0, 0x3e903f40, v20
	v_fmac_f32_e32 v35, v6, v34
	v_sub_f32_e32 v24, v33, v31
	v_add_f32_e32 v30, v12, v11
	v_add_f32_e32 v34, v25, v23
	v_sub_f32_e32 v59, v16, v15
	v_mul_f32_e32 v63, 0x3ed4b147, v26
	v_mul_f32_e32 v66, 0x3f0a6770, v57
	v_mov_b32_e32 v2, v62
	v_mov_b32_e32 v5, v65
	v_fmac_f32_e32 v1, 0xbf0a6770, v22
	v_add_f32_e32 v0, v50, v0
	v_sub_f32_e32 v28, v35, v29
	v_add_f32_e32 v38, v27, v21
	v_mul_f32_e32 v64, 0xbe11bafb, v30
	v_mul_f32_e32 v67, 0xbf4178ce, v59
	v_mov_b32_e32 v3, v63
	v_mov_b32_e32 v6, v66
	v_fmac_f32_e32 v2, 0x3f4178ce, v24
	v_fmac_f32_e32 v5, 0xbf75a155, v34
	v_add_f32_e32 v0, v1, v0
	v_sub_f32_e32 v69, v14, v13
	v_sub_f32_e32 v32, v37, v39
	v_add_f32_e32 v58, v33, v31
	v_mov_b32_e32 v4, v64
	v_mov_b32_e32 v7, v67
	v_fmac_f32_e32 v3, 0xbf68dda4, v28
	v_fmac_f32_e32 v6, 0x3f575c64, v38
	v_add_f32_e32 v5, v49, v5
	v_add_f32_e32 v0, v2, v0
	v_mul_f32_e32 v70, 0x3f68dda4, v69
	v_fmac_f32_e32 v4, 0x3f7d64f0, v32
	v_add_f32_e32 v5, v6, v5
	v_add_f32_e32 v0, v3, v0
	v_fmac_f32_e32 v7, 0xbf27a4f4, v58
	v_add_f32_e32 v68, v35, v29
	v_mov_b32_e32 v2, v70
	v_sub_f32_e32 v72, v12, v11
	v_add_f32_e32 v1, v4, v0
	v_add_f32_e32 v0, v7, v5
	v_fmac_f32_e32 v2, 0x3ed4b147, v68
	v_mul_f32_e32 v73, 0xbf7d64f0, v72
	v_add_f32_e32 v0, v2, v0
	v_add_f32_e32 v71, v37, v39
	v_mov_b32_e32 v2, v73
	v_fmac_f32_e32 v2, 0xbe11bafb, v71
	v_mul_f32_e32 v74, 0xbf27a4f4, v8
	v_add_f32_e32 v0, v2, v0
	v_mov_b32_e32 v2, v74
	v_mul_f32_e32 v75, 0xbe11bafb, v9
	v_fmac_f32_e32 v2, 0x3f4178ce, v20
	v_mov_b32_e32 v3, v75
	v_add_f32_e32 v2, v50, v2
	v_fmac_f32_e32 v3, 0xbf7d64f0, v22
	v_mul_f32_e32 v76, 0x3f575c64, v10
	v_add_f32_e32 v2, v3, v2
	v_mov_b32_e32 v3, v76
	v_fmac_f32_e32 v3, 0x3f0a6770, v24
	v_mul_f32_e32 v77, 0xbf75a155, v26
	v_add_f32_e32 v2, v3, v2
	v_mov_b32_e32 v3, v77
	v_fmac_f32_e32 v3, 0x3e903f40, v28
	v_mul_f32_e32 v78, 0x3ed4b147, v30
	v_add_f32_e32 v2, v3, v2
	v_mov_b32_e32 v3, v78
	v_fmac_f32_e32 v3, 0xbf68dda4, v32
	v_mul_f32_e32 v79, 0xbf4178ce, v36
	v_add_f32_e32 v3, v3, v2
	v_mov_b32_e32 v2, v79
	v_mul_f32_e32 v80, 0x3f7d64f0, v57
	v_fmac_f32_e32 v2, 0xbf27a4f4, v34
	v_mov_b32_e32 v4, v80
	v_add_f32_e32 v2, v49, v2
	v_fmac_f32_e32 v4, 0xbe11bafb, v38
	v_mul_f32_e32 v81, 0xbf0a6770, v59
	v_add_f32_e32 v2, v4, v2
	v_mov_b32_e32 v4, v81
	v_fmac_f32_e32 v4, 0x3f575c64, v58
	v_mul_f32_e32 v82, 0xbe903f40, v69
	v_add_f32_e32 v2, v4, v2
	v_mov_b32_e32 v4, v82
	v_fmac_f32_e32 v4, 0xbf75a155, v68
	v_mul_f32_e32 v83, 0x3f68dda4, v72
	;; [unrolled: 20-line block ×3, first 2 shown]
	v_add_f32_e32 v4, v5, v4
	v_mov_b32_e32 v5, v88
	v_mul_f32_e32 v89, 0x3e903f40, v57
	v_fmac_f32_e32 v5, 0xbe11bafb, v34
	v_mov_b32_e32 v6, v89
	v_add_f32_e32 v5, v49, v5
	v_fmac_f32_e32 v6, 0xbf75a155, v38
	v_mul_f32_e32 v90, 0x3f68dda4, v59
	v_add_f32_e32 v5, v6, v5
	v_mov_b32_e32 v6, v90
	v_fmac_f32_e32 v6, 0x3ed4b147, v58
	v_mul_f32_e32 v91, 0xbf0a6770, v69
	v_add_f32_e32 v5, v6, v5
	v_mov_b32_e32 v6, v91
	v_fmac_f32_e32 v6, 0x3f575c64, v68
	v_mul_f32_e32 v92, 0xbf27a4f4, v30
	v_add_f32_e32 v6, v6, v5
	v_mov_b32_e32 v5, v92
	v_fmac_f32_e32 v5, 0x3f4178ce, v32
	v_mul_f32_e32 v93, 0xbf4178ce, v72
	v_add_f32_e32 v5, v5, v4
	v_mov_b32_e32 v4, v93
	v_fmac_f32_e32 v4, 0xbf27a4f4, v71
	v_mul_f32_e32 v94, 0x3ed4b147, v8
	v_add_f32_e32 v4, v4, v6
	v_mov_b32_e32 v6, v94
	v_mul_f32_e32 v95, 0xbf27a4f4, v9
	v_fmac_f32_e32 v6, 0x3f68dda4, v20
	v_mov_b32_e32 v7, v95
	v_add_f32_e32 v6, v50, v6
	v_fmac_f32_e32 v7, 0x3f4178ce, v22
	v_mul_f32_e32 v96, 0xbf75a155, v10
	v_add_f32_e32 v6, v7, v6
	v_mov_b32_e32 v7, v96
	v_fmac_f32_e32 v7, 0xbe903f40, v24
	v_mul_f32_e32 v97, 0xbe11bafb, v26
	v_add_f32_e32 v6, v7, v6
	v_mov_b32_e32 v7, v97
	;; [unrolled: 4-line block ×3, first 2 shown]
	v_mul_f32_e32 v99, 0xbf4178ce, v57
	v_fmac_f32_e32 v7, 0x3ed4b147, v34
	v_mov_b32_e32 v100, v99
	v_add_f32_e32 v7, v49, v7
	v_fmac_f32_e32 v100, 0xbf27a4f4, v38
	v_add_f32_e32 v7, v100, v7
	v_mul_f32_e32 v100, 0x3e903f40, v59
	v_mov_b32_e32 v101, v100
	v_fmac_f32_e32 v101, 0xbf75a155, v58
	v_add_f32_e32 v7, v101, v7
	v_mul_f32_e32 v101, 0x3f7d64f0, v69
	v_mov_b32_e32 v102, v101
	v_fmac_f32_e32 v102, 0xbe11bafb, v68
	v_mul_f32_e32 v103, 0x3f575c64, v30
	v_add_f32_e32 v102, v102, v7
	v_mov_b32_e32 v7, v103
	v_fmac_f32_e32 v7, 0xbf0a6770, v32
	v_mul_f32_e32 v104, 0x3f0a6770, v72
	v_add_f32_e32 v7, v7, v6
	v_mov_b32_e32 v6, v104
	v_fmac_f32_e32 v6, 0x3f575c64, v71
	v_add_f32_e32 v6, v6, v102
	v_mul_f32_e32 v102, 0x3f575c64, v8
	v_mov_b32_e32 v8, v102
	v_mul_f32_e32 v105, 0x3ed4b147, v9
	v_fmac_f32_e32 v8, 0x3f0a6770, v20
	v_mov_b32_e32 v9, v105
	v_add_f32_e32 v8, v50, v8
	v_fmac_f32_e32 v9, 0x3f68dda4, v22
	v_mul_f32_e32 v106, 0xbe11bafb, v10
	v_add_f32_e32 v8, v9, v8
	v_mov_b32_e32 v9, v106
	v_fmac_f32_e32 v9, 0x3f7d64f0, v24
	v_mul_f32_e32 v26, 0xbf27a4f4, v26
	v_add_f32_e32 v8, v9, v8
	v_mov_b32_e32 v9, v26
	;; [unrolled: 4-line block ×3, first 2 shown]
	v_mul_f32_e32 v57, 0xbf68dda4, v57
	v_fmac_f32_e32 v9, 0x3f575c64, v34
	v_mov_b32_e32 v10, v57
	v_add_f32_e32 v9, v49, v9
	v_fmac_f32_e32 v10, 0x3ed4b147, v38
	v_mul_f32_e32 v59, 0xbf7d64f0, v59
	v_add_f32_e32 v9, v10, v9
	v_mov_b32_e32 v10, v59
	v_fmac_f32_e32 v10, 0xbe11bafb, v58
	v_mul_f32_e32 v69, 0xbf4178ce, v69
	v_add_f32_e32 v9, v10, v9
	v_mov_b32_e32 v10, v69
	v_fmac_f32_e32 v10, 0xbf27a4f4, v68
	v_mul_f32_e32 v30, 0xbf75a155, v30
	v_add_f32_e32 v10, v10, v9
	v_mov_b32_e32 v9, v30
	v_fmac_f32_e32 v9, 0x3e903f40, v32
	v_mul_f32_e32 v72, 0xbe903f40, v72
	v_add_f32_e32 v9, v9, v8
	v_mov_b32_e32 v8, v72
	v_fmac_f32_e32 v8, 0xbf75a155, v71
	v_add_f32_e32 v8, v8, v10
	v_add_f32_e32 v10, v50, v52
	;; [unrolled: 1-line block ×19, first 2 shown]
	v_fmac_f32_e32 v60, 0xbe903f40, v20
	v_add_f32_e32 v11, v10, v19
	v_add_f32_e32 v10, v12, v23
	;; [unrolled: 1-line block ×3, first 2 shown]
	v_fmac_f32_e32 v61, 0x3f0a6770, v22
	v_add_f32_e32 v12, v61, v12
	v_fmac_f32_e32 v62, 0xbf4178ce, v24
	v_fma_f32 v13, v34, s12, -v65
	v_add_f32_e32 v12, v62, v12
	v_fmac_f32_e32 v63, 0x3f68dda4, v28
	v_add_f32_e32 v13, v49, v13
	v_fma_f32 v14, v38, s6, -v66
	v_add_f32_e32 v12, v63, v12
	v_add_f32_e32 v13, v14, v13
	v_fma_f32 v14, v58, s11, -v67
	v_fmac_f32_e32 v64, 0xbf7d64f0, v32
	v_add_f32_e32 v14, v14, v13
	v_add_f32_e32 v13, v64, v12
	v_fma_f32 v12, v68, s7, -v70
	v_add_f32_e32 v12, v12, v14
	v_fma_f32 v14, v71, s10, -v73
	v_fmac_f32_e32 v74, 0xbf4178ce, v20
	v_add_f32_e32 v12, v14, v12
	v_add_f32_e32 v14, v50, v74
	v_fmac_f32_e32 v75, 0x3f7d64f0, v22
	v_add_f32_e32 v14, v75, v14
	v_fmac_f32_e32 v76, 0xbf0a6770, v24
	;; [unrolled: 2-line block ×4, first 2 shown]
	v_add_f32_e32 v15, v78, v14
	v_fma_f32 v14, v34, s11, -v79
	v_add_f32_e32 v14, v49, v14
	v_fma_f32 v16, v38, s10, -v80
	;; [unrolled: 2-line block ×5, first 2 shown]
	v_fmac_f32_e32 v84, 0xbf7d64f0, v20
	v_add_f32_e32 v14, v16, v14
	v_add_f32_e32 v16, v50, v84
	v_fmac_f32_e32 v85, 0x3e903f40, v22
	v_add_f32_e32 v16, v85, v16
	v_fmac_f32_e32 v86, 0x3f68dda4, v24
	v_add_f32_e32 v16, v86, v16
	v_fmac_f32_e32 v87, 0xbf0a6770, v28
	v_add_f32_e32 v16, v87, v16
	v_fmac_f32_e32 v92, 0xbf4178ce, v32
	v_add_f32_e32 v17, v92, v16
	v_fma_f32 v16, v34, s10, -v88
	v_add_f32_e32 v16, v49, v16
	v_fma_f32 v18, v38, s12, -v89
	v_add_f32_e32 v16, v18, v16
	v_fma_f32 v18, v58, s7, -v90
	v_add_f32_e32 v16, v18, v16
	v_fma_f32 v18, v68, s6, -v91
	v_add_f32_e32 v16, v18, v16
	v_fma_f32 v18, v71, s11, -v93
	v_fmac_f32_e32 v94, 0xbf68dda4, v20
	v_add_f32_e32 v16, v18, v16
	v_add_f32_e32 v18, v50, v94
	v_fmac_f32_e32 v95, 0xbf4178ce, v22
	v_add_f32_e32 v18, v95, v18
	v_fmac_f32_e32 v96, 0x3e903f40, v24
	;; [unrolled: 2-line block ×4, first 2 shown]
	v_add_f32_e32 v19, v103, v18
	v_fma_f32 v18, v34, s7, -v98
	v_fmac_f32_e32 v102, 0xbf0a6770, v20
	v_add_f32_e32 v18, v49, v18
	v_fma_f32 v21, v38, s11, -v99
	v_add_f32_e32 v20, v50, v102
	v_fmac_f32_e32 v105, 0xbf68dda4, v22
	v_add_f32_e32 v18, v21, v18
	v_fma_f32 v21, v58, s12, -v100
	v_add_f32_e32 v20, v105, v20
	;; [unrolled: 4-line block ×4, first 2 shown]
	v_fmac_f32_e32 v30, 0xbe903f40, v32
	v_add_f32_e32 v18, v21, v18
	v_add_f32_e32 v21, v30, v20
	v_fma_f32 v20, v34, s6, -v36
	v_lshrrev_b32_e32 v23, 1, v45
	v_add_f32_e32 v20, v49, v20
	v_fma_f32 v22, v38, s7, -v57
	v_mul_lo_u32 v23, v23, 22
	v_add_f32_e32 v20, v22, v20
	v_fma_f32 v22, v58, s10, -v59
	v_add_f32_e32 v20, v22, v20
	v_fma_f32 v22, v68, s11, -v69
	;; [unrolled: 2-line block ×3, first 2 shown]
	v_add_f32_e32 v20, v22, v20
	v_or_b32_e32 v22, v23, v51
	v_lshlrev_b32_e32 v22, 3, v22
	v_add3_u32 v22, 0, v22, v55
	ds_write2_b64 v22, v[10:11], v[8:9] offset1:2
	ds_write2_b64 v22, v[6:7], v[4:5] offset0:4 offset1:6
	ds_write2_b64 v22, v[2:3], v[0:1] offset0:8 offset1:10
	;; [unrolled: 1-line block ×4, first 2 shown]
	ds_write_b64 v22, v[20:21] offset:160
.LBB0_16:
	s_or_b64 exec, exec, s[4:5]
	v_lshrrev_b16_e32 v0, 1, v40
	v_and_b32_e32 v0, 0x7f, v0
	v_lshrrev_b16_e32 v2, 1, v45
	v_mul_lo_u16_e32 v0, 0xbb, v0
	v_and_b32_e32 v2, 0x7f, v2
	v_lshrrev_b16_e32 v39, 11, v0
	v_mul_lo_u16_e32 v2, 0xbb, v2
	v_mul_lo_u16_e32 v0, 22, v39
	v_lshrrev_b16_e32 v67, 11, v2
	v_sub_u16_e32 v66, v40, v0
	v_mov_b32_e32 v0, 6
	v_mul_lo_u16_e32 v2, 22, v67
	v_mul_u32_u24_sdwa v1, v66, v0 dst_sel:DWORD dst_unused:UNUSED_PAD src0_sel:BYTE_0 src1_sel:DWORD
	v_sub_u16_e32 v68, v45, v2
	v_lshlrev_b32_e32 v1, 3, v1
	v_mul_u32_u24_sdwa v0, v68, v0 dst_sel:DWORD dst_unused:UNUSED_PAD src0_sel:BYTE_0 src1_sel:DWORD
	s_waitcnt lgkmcnt(0)
	s_barrier
	global_load_dwordx4 v[3:6], v1, s[8:9] offset:160
	global_load_dwordx4 v[7:10], v1, s[8:9] offset:176
	;; [unrolled: 1-line block ×3, first 2 shown]
	v_lshlrev_b32_e32 v0, 3, v0
	global_load_dwordx4 v[15:18], v0, s[8:9] offset:160
	global_load_dwordx4 v[19:22], v0, s[8:9] offset:176
	;; [unrolled: 1-line block ×3, first 2 shown]
	v_lshlrev_b32_e32 v27, 3, v48
	v_lshlrev_b32_e32 v28, 3, v47
	;; [unrolled: 1-line block ×3, first 2 shown]
	v_add_u32_e32 v69, 0x1000, v41
	ds_read_b64 v[0:1], v53
	v_add_u32_e32 v70, 0x1400, v41
	v_add_u32_e32 v71, 0x1800, v41
	v_add3_u32 v2, 0, v56, v55
	v_add_u32_e32 v72, 0x600, v41
	v_add3_u32 v73, 0, v27, v55
	v_add3_u32 v74, 0, v28, v55
	;; [unrolled: 1-line block ×3, first 2 shown]
	ds_read2_b64 v[27:30], v69 offset0:27 offset1:104
	ds_read2_b64 v[31:34], v70 offset0:53 offset1:130
	;; [unrolled: 1-line block ×4, first 2 shown]
	ds_read_b64 v[56:57], v73
	ds_read_b64 v[58:59], v74
	;; [unrolled: 1-line block ×4, first 2 shown]
	ds_read_b64 v[64:65], v41 offset:8008
	s_mov_b32 s4, 0xbf5ff5aa
	s_mov_b32 s6, 0x3f3bfb3b
	s_mov_b32 s5, 0xbf3bfb3b
	s_mov_b32 s7, 0x3eae86e6
	s_movk_i32 s0, 0x4d0
	s_waitcnt vmcnt(0) lgkmcnt(0)
	s_barrier
	v_mul_f32_e32 v76, v4, v57
	v_mul_f32_e32 v4, v4, v56
	;; [unrolled: 1-line block ×18, first 2 shown]
	v_fmac_f32_e32 v76, v3, v56
	v_fma_f32 v3, v3, v57, -v4
	v_fmac_f32_e32 v77, v5, v58
	v_fma_f32 v4, v5, v59, -v6
	v_fma_f32 v5, v7, v61, -v8
	v_fmac_f32_e32 v79, v9, v29
	v_fma_f32 v6, v9, v30, -v10
	v_fmac_f32_e32 v80, v33, v11
	v_fmac_f32_e32 v81, v37, v13
	v_fma_f32 v8, v38, v13, -v14
	v_mul_f32_e32 v9, v64, v26
	v_fmac_f32_e32 v78, v7, v60
	v_fma_f32 v7, v34, v11, -v12
	v_fmac_f32_e32 v82, v49, v15
	v_fma_f32 v15, v50, v15, -v16
	v_fma_f32 v16, v52, v17, -v18
	v_fmac_f32_e32 v85, v31, v21
	v_fma_f32 v18, v32, v21, -v22
	v_fma_f32 v21, v65, v25, -v9
	v_add_f32_e32 v9, v76, v81
	v_add_f32_e32 v10, v3, v8
	v_sub_f32_e32 v3, v3, v8
	v_add_f32_e32 v8, v77, v80
	v_mul_f32_e32 v84, v28, v20
	v_mul_f32_e32 v20, v27, v20
	;; [unrolled: 1-line block ×4, first 2 shown]
	v_add_f32_e32 v12, v4, v7
	v_sub_f32_e32 v4, v4, v7
	v_add_f32_e32 v7, v78, v79
	v_add_f32_e32 v14, v5, v6
	v_sub_f32_e32 v5, v6, v5
	v_add_f32_e32 v6, v8, v9
	v_fmac_f32_e32 v83, v51, v17
	v_fmac_f32_e32 v84, v27, v19
	v_fma_f32 v17, v28, v19, -v20
	v_fmac_f32_e32 v86, v35, v23
	v_fma_f32 v19, v36, v23, -v24
	v_add_f32_e32 v23, v12, v10
	v_add_f32_e32 v6, v7, v6
	v_mul_f32_e32 v20, v65, v26
	v_sub_f32_e32 v11, v76, v81
	v_sub_f32_e32 v13, v77, v80
	;; [unrolled: 1-line block ×6, first 2 shown]
	v_add_f32_e32 v7, v14, v23
	v_add_f32_e32 v0, v6, v0
	v_fmac_f32_e32 v20, v64, v25
	v_sub_f32_e32 v25, v12, v10
	v_sub_f32_e32 v10, v10, v14
	;; [unrolled: 1-line block ×3, first 2 shown]
	v_add_f32_e32 v26, v22, v13
	v_sub_f32_e32 v28, v22, v13
	v_sub_f32_e32 v13, v13, v11
	v_add_f32_e32 v1, v7, v1
	v_mov_b32_e32 v30, v0
	v_add_f32_e32 v27, v5, v4
	v_sub_f32_e32 v29, v5, v4
	v_sub_f32_e32 v22, v11, v22
	;; [unrolled: 1-line block ×3, first 2 shown]
	v_add_f32_e32 v11, v26, v11
	v_mul_f32_e32 v9, 0x3f4a47b2, v9
	v_mul_f32_e32 v10, 0x3f4a47b2, v10
	;; [unrolled: 1-line block ×6, first 2 shown]
	v_fmac_f32_e32 v30, 0xbf955555, v6
	v_mov_b32_e32 v6, v1
	v_sub_f32_e32 v5, v3, v5
	v_add_f32_e32 v3, v27, v3
	v_mul_f32_e32 v27, 0x3f08b237, v29
	v_mul_f32_e32 v29, 0xbf5ff5aa, v4
	v_fmac_f32_e32 v6, 0xbf955555, v7
	v_fma_f32 v7, v24, s6, -v14
	v_fma_f32 v14, v25, s6, -v23
	;; [unrolled: 1-line block ×3, first 2 shown]
	v_fmac_f32_e32 v9, 0x3d64c772, v8
	v_fma_f32 v8, v25, s5, -v10
	v_fmac_f32_e32 v10, 0x3d64c772, v12
	v_fma_f32 v12, v13, s4, -v26
	;; [unrolled: 2-line block ×3, first 2 shown]
	v_fma_f32 v24, v5, s7, -v29
	v_add_f32_e32 v28, v10, v6
	v_add_f32_e32 v10, v14, v6
	;; [unrolled: 1-line block ×4, first 2 shown]
	v_fmac_f32_e32 v12, 0xbee1c552, v11
	v_fmac_f32_e32 v22, 0xbee1c552, v11
	v_fmac_f32_e32 v26, 0xbee1c552, v11
	v_fmac_f32_e32 v24, 0xbee1c552, v3
	v_sub_f32_e32 v6, v23, v22
	v_add_f32_e32 v8, v12, v10
	v_sub_f32_e32 v10, v10, v12
	v_add_f32_e32 v12, v22, v23
	v_add_f32_e32 v22, v82, v20
	;; [unrolled: 1-line block ×3, first 2 shown]
	v_sub_f32_e32 v15, v15, v21
	v_add_f32_e32 v21, v83, v86
	v_fma_f32 v13, v4, s4, -v27
	v_fmac_f32_e32 v27, 0xbeae86e6, v5
	v_sub_f32_e32 v4, v28, v26
	v_add_f32_e32 v5, v24, v14
	v_sub_f32_e32 v11, v14, v24
	v_add_f32_e32 v14, v26, v28
	v_add_f32_e32 v24, v16, v19
	v_sub_f32_e32 v16, v16, v19
	v_add_f32_e32 v19, v84, v85
	;; [unrolled: 3-line block ×3, first 2 shown]
	v_add_f32_e32 v25, v9, v30
	v_add_f32_e32 v9, v7, v30
	v_fmac_f32_e32 v27, 0xbee1c552, v3
	v_fmac_f32_e32 v13, 0xbee1c552, v3
	v_add_f32_e32 v28, v24, v23
	v_add_f32_e32 v32, v17, v16
	v_add_f32_e32 v18, v19, v18
	v_add_f32_e32 v3, v27, v25
	v_sub_f32_e32 v7, v9, v13
	v_add_f32_e32 v9, v13, v9
	v_sub_f32_e32 v13, v25, v27
	v_sub_f32_e32 v25, v83, v86
	;; [unrolled: 1-line block ×12, first 2 shown]
	v_add_f32_e32 v19, v26, v28
	v_add_f32_e32 v26, v32, v15
	;; [unrolled: 1-line block ×3, first 2 shown]
	v_sub_f32_e32 v20, v82, v20
	v_add_f32_e32 v31, v27, v25
	v_sub_f32_e32 v33, v27, v25
	v_add_f32_e32 v16, v19, v63
	v_mov_b32_e32 v37, v15
	v_sub_f32_e32 v27, v20, v27
	v_sub_f32_e32 v25, v25, v20
	v_add_f32_e32 v20, v31, v20
	v_mul_f32_e32 v22, 0x3f4a47b2, v22
	v_mul_f32_e32 v23, 0x3f4a47b2, v23
	;; [unrolled: 1-line block ×7, first 2 shown]
	v_fmac_f32_e32 v37, 0xbf955555, v18
	v_mov_b32_e32 v18, v16
	v_mul_f32_e32 v34, 0xbf5ff5aa, v25
	v_fmac_f32_e32 v18, 0xbf955555, v19
	v_fma_f32 v19, v29, s6, -v28
	v_fma_f32 v28, v30, s6, -v31
	;; [unrolled: 1-line block ×3, first 2 shown]
	v_fmac_f32_e32 v22, 0x3d64c772, v21
	v_fma_f32 v21, v30, s5, -v23
	v_fmac_f32_e32 v23, 0x3d64c772, v24
	v_fma_f32 v24, v25, s4, -v32
	v_fma_f32 v25, v35, s4, -v33
	;; [unrolled: 1-line block ×3, first 2 shown]
	v_fmac_f32_e32 v32, 0xbeae86e6, v27
	v_fmac_f32_e32 v33, 0xbeae86e6, v17
	v_fma_f32 v27, v27, s7, -v34
	v_add_f32_e32 v34, v23, v18
	v_add_f32_e32 v23, v19, v37
	;; [unrolled: 1-line block ×3, first 2 shown]
	v_fmac_f32_e32 v25, 0xbee1c552, v26
	v_fmac_f32_e32 v30, 0xbee1c552, v26
	v_add_f32_e32 v31, v22, v37
	v_add_f32_e32 v35, v21, v18
	v_fmac_f32_e32 v33, 0xbee1c552, v26
	v_fmac_f32_e32 v27, 0xbee1c552, v20
	v_add_f32_e32 v19, v30, v29
	v_sub_f32_e32 v21, v23, v25
	v_add_f32_e32 v23, v25, v23
	v_sub_f32_e32 v25, v29, v30
	v_mov_b32_e32 v30, 3
	v_fmac_f32_e32 v32, 0xbee1c552, v20
	v_fmac_f32_e32 v24, 0xbee1c552, v20
	v_add_f32_e32 v17, v33, v31
	v_sub_f32_e32 v20, v35, v27
	v_add_f32_e32 v26, v27, v35
	v_sub_f32_e32 v27, v31, v33
	v_mad_u32_u24 v29, v39, s0, 0
	v_lshlrev_b32_sdwa v31, v30, v66 dst_sel:DWORD dst_unused:UNUSED_PAD src0_sel:DWORD src1_sel:BYTE_0
	v_add3_u32 v29, v29, v31, v55
	ds_write2_b64 v29, v[0:1], v[3:4] offset1:22
	ds_write2_b64 v29, v[5:6], v[7:8] offset0:44 offset1:66
	ds_write2_b64 v29, v[9:10], v[11:12] offset0:88 offset1:110
	ds_write_b64 v29, v[13:14] offset:1056
	v_mad_u32_u24 v0, v67, s0, 0
	v_lshlrev_b32_sdwa v1, v30, v68 dst_sel:DWORD dst_unused:UNUSED_PAD src0_sel:DWORD src1_sel:BYTE_0
	v_add_f32_e32 v28, v28, v18
	v_sub_f32_e32 v18, v34, v32
	v_add3_u32 v0, v0, v1, v55
	v_add_f32_e32 v22, v24, v28
	v_sub_f32_e32 v24, v28, v24
	v_add_f32_e32 v28, v32, v34
	ds_write2_b64 v0, v[15:16], v[17:18] offset1:22
	ds_write2_b64 v0, v[19:20], v[21:22] offset0:44 offset1:66
	ds_write2_b64 v0, v[23:24], v[25:26] offset0:88 offset1:110
	ds_write_b64 v0, v[27:28] offset:1056
	v_mul_u32_u24_e32 v0, 6, v40
	v_lshlrev_b32_e32 v0, 3, v0
	s_waitcnt lgkmcnt(0)
	s_barrier
	global_load_dwordx4 v[3:6], v0, s[8:9] offset:1216
	global_load_dwordx4 v[7:10], v0, s[8:9] offset:1232
	;; [unrolled: 1-line block ×3, first 2 shown]
	v_mul_i32_i24_e32 v0, 6, v45
	v_mov_b32_e32 v1, 0
	v_lshlrev_b64 v[15:16], 3, v[0:1]
	v_mov_b32_e32 v0, s9
	v_add_co_u32_e64 v27, s[0:1], s8, v15
	v_addc_co_u32_e64 v28, s[0:1], v0, v16, s[0:1]
	global_load_dwordx4 v[15:18], v[27:28], off offset:1216
	global_load_dwordx4 v[19:22], v[27:28], off offset:1232
	;; [unrolled: 1-line block ×3, first 2 shown]
	ds_read_b64 v[55:56], v53
	ds_read_b64 v[57:58], v73
	;; [unrolled: 1-line block ×3, first 2 shown]
	ds_read2_b64 v[27:30], v69 offset0:27 offset1:104
	ds_read2_b64 v[31:34], v70 offset0:53 offset1:130
	;; [unrolled: 1-line block ×3, first 2 shown]
	ds_read_b64 v[61:62], v75
	ds_read_b64 v[63:64], v2
	ds_read2_b64 v[49:52], v72 offset0:39 offset1:193
	ds_read_b64 v[65:66], v41 offset:8008
	s_waitcnt vmcnt(0) lgkmcnt(0)
	s_barrier
	v_cmp_ne_u32_e64 s[0:1], 0, v40
	v_mul_f32_e32 v0, v4, v58
	v_mul_f32_e32 v4, v4, v57
	v_fmac_f32_e32 v0, v3, v57
	v_fma_f32 v3, v3, v58, -v4
	v_mul_f32_e32 v4, v6, v60
	v_mul_f32_e32 v6, v6, v59
	v_fmac_f32_e32 v4, v5, v59
	v_fma_f32 v5, v5, v60, -v6
	;; [unrolled: 4-line block ×6, first 2 shown]
	v_mul_f32_e32 v14, v49, v16
	v_fma_f32 v30, v50, v15, -v14
	v_mul_f32_e32 v33, v52, v18
	v_mul_f32_e32 v14, v51, v18
	v_fmac_f32_e32 v33, v51, v17
	v_fma_f32 v17, v52, v17, -v14
	v_mul_f32_e32 v18, v28, v20
	v_mul_f32_e32 v14, v27, v20
	v_fmac_f32_e32 v18, v27, v19
	;; [unrolled: 4-line block ×4, first 2 shown]
	v_fma_f32 v23, v36, v23, -v14
	v_mul_f32_e32 v24, v66, v26
	v_mul_f32_e32 v14, v65, v26
	v_mul_f32_e32 v29, v50, v16
	v_fmac_f32_e32 v24, v65, v25
	v_fma_f32 v25, v66, v25, -v14
	v_add_f32_e32 v14, v0, v12
	v_sub_f32_e32 v0, v0, v12
	v_add_f32_e32 v12, v4, v10
	v_fmac_f32_e32 v29, v49, v15
	v_add_f32_e32 v15, v3, v13
	v_sub_f32_e32 v3, v3, v13
	v_add_f32_e32 v13, v5, v11
	v_sub_f32_e32 v4, v4, v10
	v_sub_f32_e32 v5, v5, v11
	v_add_f32_e32 v10, v6, v8
	v_add_f32_e32 v11, v7, v9
	v_sub_f32_e32 v6, v8, v6
	v_sub_f32_e32 v7, v9, v7
	v_add_f32_e32 v8, v12, v14
	v_add_f32_e32 v9, v13, v15
	;; [unrolled: 1-line block ×4, first 2 shown]
	v_sub_f32_e32 v16, v12, v14
	v_sub_f32_e32 v14, v14, v10
	;; [unrolled: 1-line block ×6, first 2 shown]
	v_add_f32_e32 v9, v11, v9
	v_add_f32_e32 v10, v28, v3
	;; [unrolled: 1-line block ×3, first 2 shown]
	v_sub_f32_e32 v26, v13, v15
	v_sub_f32_e32 v15, v15, v11
	;; [unrolled: 1-line block ×3, first 2 shown]
	v_add_f32_e32 v27, v6, v4
	v_sub_f32_e32 v31, v6, v4
	v_sub_f32_e32 v34, v4, v0
	v_add_f32_e32 v4, v9, v56
	v_mov_b32_e32 v36, v3
	v_sub_f32_e32 v6, v0, v6
	v_add_f32_e32 v0, v27, v0
	v_mul_f32_e32 v11, 0x3f4a47b2, v14
	v_mul_f32_e32 v14, 0x3f4a47b2, v15
	;; [unrolled: 1-line block ×7, first 2 shown]
	v_fmac_f32_e32 v36, 0xbf955555, v8
	v_mov_b32_e32 v8, v4
	v_mul_f32_e32 v35, 0xbf5ff5aa, v5
	v_fmac_f32_e32 v8, 0xbf955555, v9
	v_fma_f32 v9, v16, s6, -v15
	v_fma_f32 v15, v26, s6, -v27
	;; [unrolled: 1-line block ×3, first 2 shown]
	v_fmac_f32_e32 v11, 0x3d64c772, v12
	v_fma_f32 v12, v26, s5, -v14
	v_fmac_f32_e32 v14, 0x3d64c772, v13
	v_fma_f32 v13, v34, s4, -v28
	v_fma_f32 v27, v6, s7, -v32
	v_fmac_f32_e32 v28, 0xbeae86e6, v6
	v_fma_f32 v26, v5, s4, -v31
	v_fmac_f32_e32 v31, 0xbeae86e6, v7
	v_fma_f32 v32, v7, s7, -v35
	v_add_f32_e32 v35, v14, v8
	v_add_f32_e32 v14, v15, v8
	v_add_f32_e32 v15, v16, v36
	v_add_f32_e32 v16, v12, v8
	v_fmac_f32_e32 v13, 0xbee1c552, v0
	v_fmac_f32_e32 v27, 0xbee1c552, v0
	v_add_f32_e32 v34, v11, v36
	v_add_f32_e32 v11, v9, v36
	v_fmac_f32_e32 v28, 0xbee1c552, v0
	v_fmac_f32_e32 v31, 0xbee1c552, v10
	v_fmac_f32_e32 v26, 0xbee1c552, v10
	v_fmac_f32_e32 v32, 0xbee1c552, v10
	v_sub_f32_e32 v8, v16, v27
	v_add_f32_e32 v10, v13, v14
	v_sub_f32_e32 v12, v14, v13
	v_add_f32_e32 v14, v27, v16
	v_add_f32_e32 v0, v29, v24
	;; [unrolled: 1-line block ×3, first 2 shown]
	v_sub_f32_e32 v6, v35, v28
	v_sub_f32_e32 v9, v11, v26
	v_add_f32_e32 v11, v26, v11
	v_add_f32_e32 v16, v28, v35
	;; [unrolled: 1-line block ×4, first 2 shown]
	v_sub_f32_e32 v17, v17, v23
	v_add_f32_e32 v23, v18, v20
	v_sub_f32_e32 v18, v20, v18
	v_add_f32_e32 v20, v27, v0
	v_sub_f32_e32 v24, v29, v24
	v_sub_f32_e32 v25, v30, v25
	v_add_f32_e32 v29, v19, v21
	v_sub_f32_e32 v19, v21, v19
	v_add_f32_e32 v21, v28, v26
	v_add_f32_e32 v20, v23, v20
	v_sub_f32_e32 v22, v33, v22
	v_add_f32_e32 v33, v19, v17
	v_sub_f32_e32 v35, v19, v17
	v_sub_f32_e32 v37, v17, v25
	v_add_f32_e32 v21, v29, v21
	v_add_f32_e32 v17, v20, v63
	;; [unrolled: 1-line block ×4, first 2 shown]
	v_sub_f32_e32 v13, v15, v32
	v_sub_f32_e32 v15, v34, v31
	;; [unrolled: 1-line block ×8, first 2 shown]
	v_add_f32_e32 v32, v18, v22
	v_sub_f32_e32 v34, v18, v22
	v_sub_f32_e32 v36, v24, v18
	;; [unrolled: 1-line block ×3, first 2 shown]
	v_add_f32_e32 v18, v21, v64
	v_mov_b32_e32 v38, v17
	v_sub_f32_e32 v19, v25, v19
	v_add_f32_e32 v23, v32, v24
	v_add_f32_e32 v24, v33, v25
	v_mul_f32_e32 v0, 0x3f4a47b2, v0
	v_mul_f32_e32 v25, 0x3f4a47b2, v26
	;; [unrolled: 1-line block ×8, first 2 shown]
	v_fmac_f32_e32 v38, 0xbf955555, v20
	v_mov_b32_e32 v20, v18
	v_fmac_f32_e32 v20, 0xbf955555, v21
	v_fma_f32 v21, v30, s6, -v26
	v_fma_f32 v26, v31, s6, -v29
	;; [unrolled: 1-line block ×3, first 2 shown]
	v_fmac_f32_e32 v0, 0x3d64c772, v27
	v_fma_f32 v27, v31, s5, -v25
	v_fma_f32 v30, v37, s4, -v33
	v_fmac_f32_e32 v33, 0xbeae86e6, v19
	v_fma_f32 v31, v36, s7, -v34
	v_fma_f32 v34, v19, s7, -v35
	v_fmac_f32_e32 v25, 0x3d64c772, v28
	v_add_f32_e32 v0, v0, v38
	v_add_f32_e32 v29, v29, v38
	v_fmac_f32_e32 v33, 0xbee1c552, v24
	v_fmac_f32_e32 v34, 0xbee1c552, v24
	v_fma_f32 v28, v22, s4, -v32
	v_fmac_f32_e32 v32, 0xbeae86e6, v36
	v_add_f32_e32 v35, v25, v20
	v_add_f32_e32 v25, v21, v38
	;; [unrolled: 1-line block ×5, first 2 shown]
	v_sub_f32_e32 v27, v29, v34
	v_sub_f32_e32 v29, v0, v33
	v_add_u32_e32 v0, 0x800, v41
	v_add_f32_e32 v26, v26, v20
	v_fmac_f32_e32 v32, 0xbee1c552, v23
	v_fmac_f32_e32 v28, 0xbee1c552, v23
	;; [unrolled: 1-line block ×4, first 2 shown]
	ds_write2_b64 v0, v[7:8], v[9:10] offset0:52 offset1:206
	v_add_u32_e32 v0, 0x1200, v41
	v_sub_f32_e32 v20, v35, v32
	v_sub_f32_e32 v22, v36, v31
	;; [unrolled: 1-line block ×3, first 2 shown]
	v_add_f32_e32 v24, v28, v26
	ds_write2_b64 v41, v[3:4], v[5:6] offset1:154
	ds_write2_b64 v0, v[11:12], v[13:14] offset0:40 offset1:194
	ds_write_b64 v41, v[15:16] offset:7392
	ds_write2_b64 v2, v[17:18], v[19:20] offset1:154
	v_add_u32_e32 v0, 0x800, v2
	v_add_f32_e32 v25, v30, v25
	v_sub_f32_e32 v26, v26, v28
	v_add_f32_e32 v28, v31, v36
	ds_write2_b64 v0, v[21:22], v[23:24] offset0:52 offset1:206
	v_add_u32_e32 v0, 0x1200, v2
	v_add_f32_e32 v30, v32, v35
	ds_write2_b64 v0, v[25:26], v[27:28] offset0:40 offset1:194
	ds_write_b64 v2, v[29:30] offset:7392
	s_waitcnt lgkmcnt(0)
	s_barrier
	ds_read_b64 v[4:5], v53
	s_add_u32 s6, s8, 0x21a0
	s_addc_u32 s7, s9, 0
	v_sub_u32_e32 v6, v54, v46
                                        ; implicit-def: $vgpr8
                                        ; implicit-def: $vgpr7
                                        ; implicit-def: $vgpr2_vgpr3
	s_and_saveexec_b64 s[4:5], s[0:1]
	s_xor_b64 s[4:5], exec, s[4:5]
	s_cbranch_execz .LBB0_18
; %bb.17:
	v_mov_b32_e32 v41, v1
	v_lshlrev_b64 v[0:1], 3, v[40:41]
	v_mov_b32_e32 v2, s7
	v_add_co_u32_e64 v0, s[0:1], s6, v0
	v_addc_co_u32_e64 v1, s[0:1], v2, v1, s[0:1]
	global_load_dwordx2 v[0:1], v[0:1], off
	ds_read_b64 v[2:3], v6 offset:8624
	s_waitcnt lgkmcnt(0)
	v_add_f32_e32 v7, v3, v5
	v_sub_f32_e32 v3, v5, v3
	v_add_f32_e32 v8, v2, v4
	v_sub_f32_e32 v2, v4, v2
	v_mul_f32_e32 v4, 0.5, v7
	v_mul_f32_e32 v3, 0.5, v3
	;; [unrolled: 1-line block ×3, first 2 shown]
	s_waitcnt vmcnt(0)
	v_fma_f32 v9, v4, v1, v3
	v_mul_f32_e32 v5, v1, v2
	v_fma_f32 v1, v4, v1, -v3
	v_fma_f32 v3, -v0, v2, v9
	v_fma_f32 v7, 0.5, v8, v5
	v_fma_f32 v5, v8, 0.5, -v5
	v_fma_f32 v1, -v0, v2, v1
	ds_write_b32 v53, v3 offset:4
	v_mov_b32_e32 v2, v40
	v_fmac_f32_e32 v7, v0, v4
	v_fma_f32 v8, -v0, v4, v5
	ds_write_b32 v6, v1 offset:8628
	v_mov_b32_e32 v3, v41
                                        ; implicit-def: $vgpr4_vgpr5
.LBB0_18:
	s_andn2_saveexec_b64 s[0:1], s[4:5]
	s_cbranch_execz .LBB0_20
; %bb.19:
	v_mov_b32_e32 v0, 0
	ds_write_b32 v53, v0 offset:4
	ds_write_b32 v6, v0 offset:8628
	ds_read_b32 v0, v54 offset:4316
	v_mov_b32_e32 v2, 0
	s_waitcnt lgkmcnt(3)
	v_add_f32_e32 v7, v4, v5
	v_sub_f32_e32 v8, v4, v5
	v_mov_b32_e32 v3, 0
	s_waitcnt lgkmcnt(0)
	v_xor_b32_e32 v0, 0x80000000, v0
	ds_write_b32 v54, v0 offset:4316
.LBB0_20:
	s_or_b64 exec, exec, s[0:1]
	v_mov_b32_e32 v46, 0
	v_lshlrev_b64 v[0:1], 3, v[45:46]
	s_waitcnt lgkmcnt(0)
	v_mov_b32_e32 v4, s7
	v_add_co_u32_e64 v0, s[0:1], s6, v0
	v_addc_co_u32_e64 v1, s[0:1], v4, v1, s[0:1]
	global_load_dwordx2 v[4:5], v[0:1], off
	v_mov_b32_e32 v49, v46
	v_lshlrev_b64 v[0:1], 3, v[48:49]
	v_mov_b32_e32 v9, s7
	v_add_co_u32_e64 v0, s[0:1], s6, v0
	v_addc_co_u32_e64 v1, s[0:1], v9, v1, s[0:1]
	global_load_dwordx2 v[9:10], v[0:1], off
	v_lshlrev_b64 v[0:1], 3, v[2:3]
	v_mov_b32_e32 v3, s7
	v_add_co_u32_e64 v2, s[0:1], s6, v0
	v_addc_co_u32_e64 v3, s[0:1], v3, v1, s[0:1]
	global_load_dwordx2 v[11:12], v[2:3], off offset:1848
	v_lshl_add_u32 v22, v48, 3, v54
	v_mov_b32_e32 v48, v46
	v_lshlrev_b64 v[15:16], 3, v[47:48]
	ds_write_b32 v53, v7
	ds_write_b32 v6, v8 offset:8624
	v_lshl_add_u32 v21, v45, 3, v54
	v_mov_b32_e32 v17, s7
	v_add_co_u32_e64 v15, s[0:1], s6, v15
	ds_read_b64 v[7:8], v21
	ds_read_b64 v[13:14], v6 offset:8008
	v_addc_co_u32_e64 v16, s[0:1], v17, v16, s[0:1]
	global_load_dwordx2 v[17:18], v[15:16], off
	global_load_dwordx2 v[19:20], v[2:3], off offset:3080
	v_mov_b32_e32 v45, v46
	s_waitcnt lgkmcnt(0)
	v_add_f32_e32 v2, v7, v13
	v_add_f32_e32 v3, v8, v14
	v_sub_f32_e32 v7, v7, v13
	v_sub_f32_e32 v8, v8, v14
	v_mul_f32_e32 v13, 0.5, v3
	v_mul_f32_e32 v3, 0.5, v7
	;; [unrolled: 1-line block ×3, first 2 shown]
	v_add_u32_e32 v23, 0x400, v53
	s_waitcnt vmcnt(4)
	v_mul_f32_e32 v8, v5, v3
	v_fma_f32 v14, v13, v5, v7
	v_fma_f32 v5, v13, v5, -v7
	v_fma_f32 v7, 0.5, v2, v8
	v_fma_f32 v14, -v4, v3, v14
	v_fma_f32 v2, v2, 0.5, -v8
	v_fmac_f32_e32 v7, v4, v13
	v_fma_f32 v3, -v4, v3, v5
	v_fma_f32 v2, -v4, v13, v2
	ds_write2_b32 v21, v7, v14 offset1:1
	ds_write_b64 v6, v[2:3] offset:8008
	ds_read_b64 v[2:3], v22
	ds_read_b64 v[4:5], v6 offset:7392
	v_lshlrev_b64 v[7:8], 3, v[44:45]
	v_mov_b32_e32 v14, s7
	v_add_co_u32_e64 v7, s[0:1], s6, v7
	s_waitcnt lgkmcnt(0)
	v_add_f32_e32 v15, v2, v4
	v_sub_f32_e32 v2, v2, v4
	v_add_f32_e32 v16, v3, v5
	v_sub_f32_e32 v3, v3, v5
	v_mul_f32_e32 v2, 0.5, v2
	v_mul_f32_e32 v4, 0.5, v16
	;; [unrolled: 1-line block ×3, first 2 shown]
	s_waitcnt vmcnt(3)
	v_mul_f32_e32 v5, v10, v2
	v_fma_f32 v16, v4, v10, v3
	v_fma_f32 v3, v4, v10, -v3
	v_fma_f32 v10, 0.5, v15, v5
	v_fma_f32 v16, -v9, v2, v16
	v_fma_f32 v5, v15, 0.5, -v5
	v_fmac_f32_e32 v10, v9, v4
	v_fma_f32 v3, -v9, v2, v3
	v_fma_f32 v2, -v9, v4, v5
	ds_write2_b32 v22, v10, v16 offset1:1
	ds_write_b64 v6, v[2:3] offset:7392
	v_addc_co_u32_e64 v8, s[0:1], v14, v8, s[0:1]
	ds_read_b64 v[2:3], v53 offset:1848
	ds_read_b64 v[4:5], v6 offset:6776
	global_load_dwordx2 v[7:8], v[7:8], off
	v_lshl_add_u32 v13, v47, 3, v54
	s_waitcnt lgkmcnt(0)
	v_add_f32_e32 v9, v2, v4
	v_sub_f32_e32 v2, v2, v4
	v_add_f32_e32 v10, v3, v5
	v_sub_f32_e32 v3, v3, v5
	v_mul_f32_e32 v2, 0.5, v2
	v_mul_f32_e32 v4, 0.5, v10
	;; [unrolled: 1-line block ×3, first 2 shown]
	s_waitcnt vmcnt(3)
	v_mul_f32_e32 v5, v12, v2
	v_fma_f32 v10, v4, v12, v3
	v_fma_f32 v3, v4, v12, -v3
	v_fma_f32 v12, 0.5, v9, v5
	v_fma_f32 v10, -v11, v2, v10
	v_fma_f32 v5, v9, 0.5, -v5
	v_fmac_f32_e32 v12, v11, v4
	v_fma_f32 v3, -v11, v2, v3
	v_fma_f32 v2, -v11, v4, v5
	ds_write2_b32 v23, v12, v10 offset0:206 offset1:207
	ds_write_b64 v6, v[2:3] offset:6776
	ds_read_b64 v[2:3], v13
	ds_read_b64 v[4:5], v6 offset:6160
	s_waitcnt lgkmcnt(0)
	v_add_f32_e32 v9, v2, v4
	v_sub_f32_e32 v2, v2, v4
	v_add_f32_e32 v10, v3, v5
	v_sub_f32_e32 v3, v3, v5
	v_mul_f32_e32 v5, 0.5, v2
	v_mul_f32_e32 v4, 0.5, v10
	;; [unrolled: 1-line block ×3, first 2 shown]
	s_waitcnt vmcnt(2)
	v_mul_f32_e32 v2, v18, v5
	v_fma_f32 v10, v4, v18, v3
	v_fma_f32 v11, 0.5, v9, v2
	v_fma_f32 v10, -v17, v5, v10
	v_fmac_f32_e32 v11, v17, v4
	v_fma_f32 v2, v9, 0.5, -v2
	v_fma_f32 v3, v4, v18, -v3
	v_fma_f32 v2, -v17, v4, v2
	v_fma_f32 v3, -v17, v5, v3
	ds_write2_b32 v13, v11, v10 offset1:1
	ds_write_b64 v6, v[2:3] offset:6160
	ds_read_b64 v[2:3], v53 offset:3080
	ds_read_b64 v[4:5], v6 offset:5544
	s_waitcnt lgkmcnt(0)
	v_add_f32_e32 v9, v2, v4
	v_sub_f32_e32 v2, v2, v4
	v_add_f32_e32 v10, v3, v5
	v_sub_f32_e32 v3, v3, v5
	v_mul_f32_e32 v2, 0.5, v2
	v_mul_f32_e32 v10, 0.5, v10
	;; [unrolled: 1-line block ×3, first 2 shown]
	s_waitcnt vmcnt(1)
	v_mul_f32_e32 v4, v20, v2
	v_fma_f32 v11, 0.5, v9, v4
	v_fma_f32 v5, v10, v20, v3
	v_fma_f32 v3, v10, v20, -v3
	v_fmac_f32_e32 v11, v19, v10
	v_fma_f32 v12, -v19, v2, v5
	v_fma_f32 v4, v9, 0.5, -v4
	v_fma_f32 v5, -v19, v2, v3
	v_add_u32_e32 v3, 0xc00, v53
	v_fma_f32 v4, -v19, v10, v4
	ds_write2_b32 v3, v11, v12 offset0:2 offset1:3
	ds_write_b64 v6, v[4:5] offset:5544
	v_lshl_add_u32 v2, v44, 3, v54
	ds_read_b64 v[4:5], v2
	ds_read_b64 v[9:10], v6 offset:4928
	s_waitcnt lgkmcnt(0)
	v_add_f32_e32 v11, v4, v9
	v_sub_f32_e32 v4, v4, v9
	v_add_f32_e32 v12, v5, v10
	v_sub_f32_e32 v5, v5, v10
	v_mul_f32_e32 v9, 0.5, v4
	v_mul_f32_e32 v12, 0.5, v12
	;; [unrolled: 1-line block ×3, first 2 shown]
	s_waitcnt vmcnt(0)
	v_mul_f32_e32 v4, v8, v9
	v_fma_f32 v10, 0.5, v11, v4
	v_fma_f32 v13, v12, v8, v5
	v_fmac_f32_e32 v10, v7, v12
	v_fma_f32 v13, -v7, v9, v13
	v_fma_f32 v4, v11, 0.5, -v4
	v_fma_f32 v5, v12, v8, -v5
	v_fma_f32 v4, -v7, v12, v4
	v_fma_f32 v5, -v7, v9, v5
	ds_write2_b32 v2, v10, v13 offset1:1
	ds_write_b64 v6, v[4:5] offset:4928
	s_waitcnt lgkmcnt(0)
	s_barrier
	s_and_saveexec_b64 s[0:1], vcc
	s_cbranch_execz .LBB0_23
; %bb.21:
	ds_read2_b64 v[5:8], v53 offset1:77
	v_mov_b32_e32 v2, s3
	v_add_co_u32_e32 v4, vcc, s2, v42
	v_addc_co_u32_e32 v2, vcc, v2, v43, vcc
	v_add_co_u32_e32 v0, vcc, v4, v0
	v_addc_co_u32_e32 v1, vcc, v2, v1, vcc
	ds_read2_b64 v[9:12], v53 offset0:154 offset1:231
	s_waitcnt lgkmcnt(1)
	global_store_dwordx2 v[0:1], v[5:6], off
	v_add_u32_e32 v5, 0x800, v53
	ds_read2_b64 v[13:16], v5 offset0:52 offset1:129
	global_store_dwordx2 v[0:1], v[7:8], off offset:616
	ds_read2_b64 v[5:8], v3 offset0:78 offset1:155
	s_waitcnt lgkmcnt(2)
	global_store_dwordx2 v[0:1], v[9:10], off offset:1232
	global_store_dwordx2 v[0:1], v[11:12], off offset:1848
	s_waitcnt lgkmcnt(1)
	global_store_dwordx2 v[0:1], v[13:14], off offset:2464
	global_store_dwordx2 v[0:1], v[15:16], off offset:3080
	s_waitcnt lgkmcnt(0)
	global_store_dwordx2 v[0:1], v[5:6], off offset:3696
	v_add_u32_e32 v3, 0x1000, v53
	ds_read2_b64 v[9:12], v3 offset0:104 offset1:181
	s_movk_i32 s0, 0x1000
	v_add_u32_e32 v3, 0x1800, v53
	v_add_co_u32_e32 v0, vcc, s0, v0
	ds_read2_b64 v[13:16], v3 offset0:2 offset1:79
	v_addc_co_u32_e32 v1, vcc, 0, v1, vcc
	s_movk_i32 s0, 0x4c
	global_store_dwordx2 v[0:1], v[7:8], off offset:216
	ds_read2_b64 v[5:8], v3 offset0:156 offset1:233
	v_cmp_eq_u32_e32 vcc, s0, v40
	s_waitcnt lgkmcnt(2)
	global_store_dwordx2 v[0:1], v[9:10], off offset:832
	global_store_dwordx2 v[0:1], v[11:12], off offset:1448
	s_waitcnt lgkmcnt(1)
	global_store_dwordx2 v[0:1], v[13:14], off offset:2064
	global_store_dwordx2 v[0:1], v[15:16], off offset:2680
	;; [unrolled: 3-line block ×3, first 2 shown]
	s_and_b64 exec, exec, vcc
	s_cbranch_execz .LBB0_23
; %bb.22:
	ds_read_b64 v[0:1], v53 offset:8016
	v_add_co_u32_e32 v3, vcc, 0x2000, v4
	v_addc_co_u32_e32 v4, vcc, 0, v2, vcc
	s_waitcnt lgkmcnt(0)
	global_store_dwordx2 v[3:4], v[0:1], off offset:432
.LBB0_23:
	s_endpgm
	.section	.rodata,"a",@progbits
	.p2align	6, 0x0
	.amdhsa_kernel fft_rtc_back_len1078_factors_2_11_7_7_wgs_231_tpt_77_halfLds_sp_ip_CI_unitstride_sbrr_R2C_dirReg
		.amdhsa_group_segment_fixed_size 0
		.amdhsa_private_segment_fixed_size 0
		.amdhsa_kernarg_size 88
		.amdhsa_user_sgpr_count 6
		.amdhsa_user_sgpr_private_segment_buffer 1
		.amdhsa_user_sgpr_dispatch_ptr 0
		.amdhsa_user_sgpr_queue_ptr 0
		.amdhsa_user_sgpr_kernarg_segment_ptr 1
		.amdhsa_user_sgpr_dispatch_id 0
		.amdhsa_user_sgpr_flat_scratch_init 0
		.amdhsa_user_sgpr_private_segment_size 0
		.amdhsa_uses_dynamic_stack 0
		.amdhsa_system_sgpr_private_segment_wavefront_offset 0
		.amdhsa_system_sgpr_workgroup_id_x 1
		.amdhsa_system_sgpr_workgroup_id_y 0
		.amdhsa_system_sgpr_workgroup_id_z 0
		.amdhsa_system_sgpr_workgroup_info 0
		.amdhsa_system_vgpr_workitem_id 0
		.amdhsa_next_free_vgpr 107
		.amdhsa_next_free_sgpr 22
		.amdhsa_reserve_vcc 1
		.amdhsa_reserve_flat_scratch 0
		.amdhsa_float_round_mode_32 0
		.amdhsa_float_round_mode_16_64 0
		.amdhsa_float_denorm_mode_32 3
		.amdhsa_float_denorm_mode_16_64 3
		.amdhsa_dx10_clamp 1
		.amdhsa_ieee_mode 1
		.amdhsa_fp16_overflow 0
		.amdhsa_exception_fp_ieee_invalid_op 0
		.amdhsa_exception_fp_denorm_src 0
		.amdhsa_exception_fp_ieee_div_zero 0
		.amdhsa_exception_fp_ieee_overflow 0
		.amdhsa_exception_fp_ieee_underflow 0
		.amdhsa_exception_fp_ieee_inexact 0
		.amdhsa_exception_int_div_zero 0
	.end_amdhsa_kernel
	.text
.Lfunc_end0:
	.size	fft_rtc_back_len1078_factors_2_11_7_7_wgs_231_tpt_77_halfLds_sp_ip_CI_unitstride_sbrr_R2C_dirReg, .Lfunc_end0-fft_rtc_back_len1078_factors_2_11_7_7_wgs_231_tpt_77_halfLds_sp_ip_CI_unitstride_sbrr_R2C_dirReg
                                        ; -- End function
	.section	.AMDGPU.csdata,"",@progbits
; Kernel info:
; codeLenInByte = 11480
; NumSgprs: 26
; NumVgprs: 107
; ScratchSize: 0
; MemoryBound: 0
; FloatMode: 240
; IeeeMode: 1
; LDSByteSize: 0 bytes/workgroup (compile time only)
; SGPRBlocks: 3
; VGPRBlocks: 26
; NumSGPRsForWavesPerEU: 26
; NumVGPRsForWavesPerEU: 107
; Occupancy: 2
; WaveLimiterHint : 1
; COMPUTE_PGM_RSRC2:SCRATCH_EN: 0
; COMPUTE_PGM_RSRC2:USER_SGPR: 6
; COMPUTE_PGM_RSRC2:TRAP_HANDLER: 0
; COMPUTE_PGM_RSRC2:TGID_X_EN: 1
; COMPUTE_PGM_RSRC2:TGID_Y_EN: 0
; COMPUTE_PGM_RSRC2:TGID_Z_EN: 0
; COMPUTE_PGM_RSRC2:TIDIG_COMP_CNT: 0
	.type	__hip_cuid_b3c1391f734e930d,@object ; @__hip_cuid_b3c1391f734e930d
	.section	.bss,"aw",@nobits
	.globl	__hip_cuid_b3c1391f734e930d
__hip_cuid_b3c1391f734e930d:
	.byte	0                               ; 0x0
	.size	__hip_cuid_b3c1391f734e930d, 1

	.ident	"AMD clang version 19.0.0git (https://github.com/RadeonOpenCompute/llvm-project roc-6.4.0 25133 c7fe45cf4b819c5991fe208aaa96edf142730f1d)"
	.section	".note.GNU-stack","",@progbits
	.addrsig
	.addrsig_sym __hip_cuid_b3c1391f734e930d
	.amdgpu_metadata
---
amdhsa.kernels:
  - .args:
      - .actual_access:  read_only
        .address_space:  global
        .offset:         0
        .size:           8
        .value_kind:     global_buffer
      - .offset:         8
        .size:           8
        .value_kind:     by_value
      - .actual_access:  read_only
        .address_space:  global
        .offset:         16
        .size:           8
        .value_kind:     global_buffer
      - .actual_access:  read_only
        .address_space:  global
        .offset:         24
        .size:           8
        .value_kind:     global_buffer
      - .offset:         32
        .size:           8
        .value_kind:     by_value
      - .actual_access:  read_only
        .address_space:  global
        .offset:         40
        .size:           8
        .value_kind:     global_buffer
      - .actual_access:  read_only
        .address_space:  global
        .offset:         48
        .size:           8
        .value_kind:     global_buffer
      - .offset:         56
        .size:           4
        .value_kind:     by_value
      - .actual_access:  read_only
        .address_space:  global
        .offset:         64
        .size:           8
        .value_kind:     global_buffer
      - .actual_access:  read_only
        .address_space:  global
        .offset:         72
        .size:           8
        .value_kind:     global_buffer
      - .address_space:  global
        .offset:         80
        .size:           8
        .value_kind:     global_buffer
    .group_segment_fixed_size: 0
    .kernarg_segment_align: 8
    .kernarg_segment_size: 88
    .language:       OpenCL C
    .language_version:
      - 2
      - 0
    .max_flat_workgroup_size: 231
    .name:           fft_rtc_back_len1078_factors_2_11_7_7_wgs_231_tpt_77_halfLds_sp_ip_CI_unitstride_sbrr_R2C_dirReg
    .private_segment_fixed_size: 0
    .sgpr_count:     26
    .sgpr_spill_count: 0
    .symbol:         fft_rtc_back_len1078_factors_2_11_7_7_wgs_231_tpt_77_halfLds_sp_ip_CI_unitstride_sbrr_R2C_dirReg.kd
    .uniform_work_group_size: 1
    .uses_dynamic_stack: false
    .vgpr_count:     107
    .vgpr_spill_count: 0
    .wavefront_size: 64
amdhsa.target:   amdgcn-amd-amdhsa--gfx906
amdhsa.version:
  - 1
  - 2
...

	.end_amdgpu_metadata
